;; amdgpu-corpus repo=ROCm/rocFFT kind=compiled arch=gfx906 opt=O3
	.text
	.amdgcn_target "amdgcn-amd-amdhsa--gfx906"
	.amdhsa_code_object_version 6
	.protected	bluestein_single_fwd_len1287_dim1_dp_op_CI_CI ; -- Begin function bluestein_single_fwd_len1287_dim1_dp_op_CI_CI
	.globl	bluestein_single_fwd_len1287_dim1_dp_op_CI_CI
	.p2align	8
	.type	bluestein_single_fwd_len1287_dim1_dp_op_CI_CI,@function
bluestein_single_fwd_len1287_dim1_dp_op_CI_CI: ; @bluestein_single_fwd_len1287_dim1_dp_op_CI_CI
; %bb.0:
	s_load_dwordx4 s[12:15], s[4:5], 0x28
	s_mov_b64 s[58:59], s[2:3]
	v_mul_u32_u24_e32 v1, 0x231, v0
	s_mov_b64 s[56:57], s[0:1]
	v_add_u32_sdwa v4, s6, v1 dst_sel:DWORD dst_unused:UNUSED_PAD src0_sel:DWORD src1_sel:WORD_1
	v_mov_b32_e32 v5, 0
	s_add_u32 s56, s56, s7
	s_waitcnt lgkmcnt(0)
	v_cmp_gt_u64_e32 vcc, s[12:13], v[4:5]
	s_addc_u32 s57, s57, 0
	s_and_saveexec_b64 s[0:1], vcc
	s_cbranch_execz .LBB0_31
; %bb.1:
	s_load_dwordx4 s[0:3], s[4:5], 0x18
	s_load_dwordx2 s[16:17], s[4:5], 0x0
	v_mov_b32_e32 v5, v4
	s_waitcnt lgkmcnt(0)
	s_load_dwordx4 s[8:11], s[0:1], 0x0
	s_movk_i32 s0, 0x75
	v_mul_lo_u16_sdwa v1, v1, s0 dst_sel:DWORD dst_unused:UNUSED_PAD src0_sel:WORD_1 src1_sel:DWORD
	v_sub_u16_e32 v90, v0, v1
	buffer_store_dword v5, off, s[56:59], 0 offset:28 ; 4-byte Folded Spill
	s_nop 0
	buffer_store_dword v6, off, s[56:59], 0 offset:32 ; 4-byte Folded Spill
	s_waitcnt lgkmcnt(0)
	v_mad_u64_u32 v[0:1], s[0:1], s10, v4, 0
	v_mad_u64_u32 v[2:3], s[0:1], s8, v90, 0
	v_lshlrev_b32_e32 v255, 4, v90
	v_add_co_u32_e64 v42, s[6:7], s16, v255
	v_mad_u64_u32 v[4:5], s[0:1], s11, v4, v[1:2]
	v_mad_u64_u32 v[5:6], s[0:1], s9, v90, v[3:4]
	v_mov_b32_e32 v1, v4
	v_lshlrev_b64 v[0:1], 4, v[0:1]
	v_mov_b32_e32 v6, s15
	v_mov_b32_e32 v3, v5
	v_add_co_u32_e32 v4, vcc, s14, v0
	v_addc_co_u32_e32 v5, vcc, v6, v1, vcc
	v_lshlrev_b64 v[0:1], 4, v[2:3]
	s_mul_i32 s0, s9, 0x1ad
	s_mul_hi_u32 s1, s8, 0x1ad
	v_add_co_u32_e32 v0, vcc, v4, v0
	v_mov_b32_e32 v2, s17
	s_add_i32 s1, s1, s0
	s_mul_i32 s0, s8, 0x1ad
	v_addc_co_u32_e32 v1, vcc, v5, v1, vcc
	v_addc_co_u32_e64 v43, vcc, 0, v2, s[6:7]
	s_lshl_b64 s[14:15], s[0:1], 4
	v_mov_b32_e32 v38, s15
	v_add_co_u32_e32 v2, vcc, s14, v0
	v_addc_co_u32_e32 v3, vcc, v1, v38, vcc
	s_movk_i32 s0, 0x1000
	global_load_dwordx4 v[6:9], v[0:1], off
	global_load_dwordx4 v[10:13], v[2:3], off
	v_add_co_u32_e32 v0, vcc, s0, v42
	v_addc_co_u32_e32 v1, vcc, 0, v43, vcc
	v_add_co_u32_e32 v2, vcc, s14, v2
	v_addc_co_u32_e32 v3, vcc, v3, v38, vcc
	global_load_dwordx4 v[54:57], v[0:1], off offset:2768
	global_load_dwordx4 v[14:17], v[2:3], off
	global_load_dwordx4 v[46:49], v255, s[16:17]
	global_load_dwordx4 v[62:65], v255, s[16:17] offset:1872
	s_movk_i32 s0, 0x3000
	s_mul_hi_u32 s1, s8, 0xfffffd1b
	v_add_co_u32_e32 v0, vcc, s0, v42
	s_mul_i32 s0, s9, 0xfffffd1b
	s_sub_i32 s1, s1, s8
	s_add_i32 s1, s1, s0
	s_mul_i32 s0, s8, 0xfffffd1b
	v_addc_co_u32_e32 v1, vcc, 0, v43, vcc
	s_lshl_b64 s[18:19], s[0:1], 4
	v_mov_b32_e32 v30, s19
	v_add_co_u32_e32 v2, vcc, s18, v2
	v_addc_co_u32_e32 v3, vcc, v3, v30, vcc
	v_add_co_u32_e32 v4, vcc, s14, v2
	v_addc_co_u32_e32 v5, vcc, v3, v38, vcc
	s_movk_i32 s0, 0x2000
	global_load_dwordx4 v[18:21], v[2:3], off
	global_load_dwordx4 v[22:25], v[4:5], off
	v_add_co_u32_e32 v2, vcc, s0, v42
	v_addc_co_u32_e32 v3, vcc, 0, v43, vcc
	v_add_co_u32_e32 v4, vcc, s14, v4
	v_addc_co_u32_e32 v5, vcc, v5, v38, vcc
	global_load_dwordx4 v[58:61], v[2:3], off offset:544
	global_load_dwordx4 v[26:29], v[4:5], off
	global_load_dwordx4 v[82:85], v[0:1], off offset:1440
	global_load_dwordx4 v[70:73], v[0:1], off offset:3312
	v_add_co_u32_e32 v4, vcc, s18, v4
	v_addc_co_u32_e32 v5, vcc, v5, v30, vcc
	global_load_dwordx4 v[30:33], v[4:5], off
	global_load_dwordx4 v[66:69], v255, s[16:17] offset:3744
	v_add_co_u32_e32 v4, vcc, s14, v4
	v_addc_co_u32_e32 v5, vcc, v5, v38, vcc
	global_load_dwordx4 v[34:37], v[4:5], off
	global_load_dwordx4 v[74:77], v[2:3], off offset:2416
	v_add_co_u32_e32 v4, vcc, s14, v4
	v_addc_co_u32_e32 v5, vcc, v5, v38, vcc
	s_movk_i32 s0, 0x4000
	v_add_co_u32_e32 v2, vcc, s0, v42
	buffer_store_dword v42, off, s[56:59], 0 offset:4 ; 4-byte Folded Spill
	buffer_store_dword v43, off, s[56:59], 0 offset:24 ; 4-byte Folded Spill
	v_addc_co_u32_e32 v3, vcc, 0, v43, vcc
	global_load_dwordx4 v[38:41], v[4:5], off
	global_load_dwordx4 v[78:81], v[2:3], off offset:1088
	s_movk_i32 s0, 0x4e
	v_cmp_gt_u16_e64 s[0:1], s0, v90
	s_waitcnt vmcnt(15)
	v_mul_f64 v[42:43], v[8:9], v[48:49]
	v_mul_f64 v[44:45], v[6:7], v[48:49]
	v_fma_f64 v[6:7], v[6:7], v[46:47], v[42:43]
	buffer_store_dword v46, off, s[56:59], 0 offset:164 ; 4-byte Folded Spill
	s_nop 0
	buffer_store_dword v47, off, s[56:59], 0 offset:168 ; 4-byte Folded Spill
	buffer_store_dword v48, off, s[56:59], 0 offset:172 ; 4-byte Folded Spill
	;; [unrolled: 1-line block ×3, first 2 shown]
	s_load_dwordx2 s[12:13], s[4:5], 0x38
	s_load_dwordx4 s[8:11], s[2:3], 0x0
	s_waitcnt vmcnt(17)
	v_mul_f64 v[48:49], v[18:19], v[64:65]
	s_waitcnt vmcnt(13)
	v_mul_f64 v[42:43], v[16:17], v[84:85]
	v_mul_f64 v[50:51], v[24:25], v[60:61]
	;; [unrolled: 1-line block ×3, first 2 shown]
	v_fma_f64 v[8:9], v[8:9], v[46:47], -v[44:45]
	v_mul_f64 v[46:47], v[20:21], v[64:65]
	v_mul_f64 v[44:45], v[14:15], v[84:85]
	ds_write_b128 v255, v[6:9]
	v_mul_f64 v[6:7], v[12:13], v[56:57]
	v_mul_f64 v[8:9], v[10:11], v[56:57]
	v_fma_f64 v[6:7], v[10:11], v[54:55], v[6:7]
	buffer_store_dword v54, off, s[56:59], 0 offset:36 ; 4-byte Folded Spill
	s_nop 0
	buffer_store_dword v55, off, s[56:59], 0 offset:40 ; 4-byte Folded Spill
	buffer_store_dword v56, off, s[56:59], 0 offset:44 ; 4-byte Folded Spill
	buffer_store_dword v57, off, s[56:59], 0 offset:48 ; 4-byte Folded Spill
	v_fma_f64 v[10:11], v[14:15], v[82:83], v[42:43]
	buffer_store_dword v82, off, s[56:59], 0 offset:148 ; 4-byte Folded Spill
	s_nop 0
	buffer_store_dword v83, off, s[56:59], 0 offset:152 ; 4-byte Folded Spill
	buffer_store_dword v84, off, s[56:59], 0 offset:156 ; 4-byte Folded Spill
	buffer_store_dword v85, off, s[56:59], 0 offset:160 ; 4-byte Folded Spill
	;; [unrolled: 6-line block ×4, first 2 shown]
	s_waitcnt vmcnt(28)
	v_mul_f64 v[22:23], v[28:29], v[72:73]
	s_waitcnt vmcnt(26)
	v_mul_f64 v[42:43], v[32:33], v[68:69]
	s_waitcnt vmcnt(24)
	v_mul_f64 v[46:47], v[36:37], v[76:77]
	s_waitcnt vmcnt(20)
	v_mul_f64 v[50:51], v[40:41], v[80:81]
	v_fma_f64 v[22:23], v[26:27], v[70:71], v[22:23]
	v_fma_f64 v[8:9], v[12:13], v[54:55], -v[8:9]
	v_fma_f64 v[12:13], v[16:17], v[82:83], -v[44:45]
	v_mul_f64 v[44:45], v[30:31], v[68:69]
	v_fma_f64 v[16:17], v[20:21], v[62:63], -v[48:49]
	v_mul_f64 v[48:49], v[34:35], v[76:77]
	;; [unrolled: 2-line block ×3, first 2 shown]
	buffer_store_dword v70, off, s[56:59], 0 offset:100 ; 4-byte Folded Spill
	s_nop 0
	buffer_store_dword v71, off, s[56:59], 0 offset:104 ; 4-byte Folded Spill
	buffer_store_dword v72, off, s[56:59], 0 offset:108 ; 4-byte Folded Spill
	;; [unrolled: 1-line block ×3, first 2 shown]
	v_fma_f64 v[26:27], v[30:31], v[66:67], v[42:43]
	buffer_store_dword v66, off, s[56:59], 0 offset:84 ; 4-byte Folded Spill
	s_nop 0
	buffer_store_dword v67, off, s[56:59], 0 offset:88 ; 4-byte Folded Spill
	buffer_store_dword v68, off, s[56:59], 0 offset:92 ; 4-byte Folded Spill
	;; [unrolled: 1-line block ×3, first 2 shown]
	v_fma_f64 v[30:31], v[34:35], v[74:75], v[46:47]
	buffer_store_dword v74, off, s[56:59], 0 offset:116 ; 4-byte Folded Spill
	s_nop 0
	buffer_store_dword v75, off, s[56:59], 0 offset:120 ; 4-byte Folded Spill
	buffer_store_dword v76, off, s[56:59], 0 offset:124 ; 4-byte Folded Spill
	;; [unrolled: 1-line block ×3, first 2 shown]
	v_mul_f64 v[52:53], v[38:39], v[80:81]
	v_fma_f64 v[34:35], v[38:39], v[78:79], v[50:51]
	buffer_store_dword v78, off, s[56:59], 0 offset:132 ; 4-byte Folded Spill
	s_nop 0
	buffer_store_dword v79, off, s[56:59], 0 offset:136 ; 4-byte Folded Spill
	buffer_store_dword v80, off, s[56:59], 0 offset:140 ; 4-byte Folded Spill
	buffer_store_dword v81, off, s[56:59], 0 offset:144 ; 4-byte Folded Spill
	v_fma_f64 v[24:25], v[28:29], v[70:71], -v[24:25]
	v_fma_f64 v[28:29], v[32:33], v[66:67], -v[44:45]
	;; [unrolled: 1-line block ×4, first 2 shown]
	ds_write_b128 v255, v[6:9] offset:6864
	ds_write_b128 v255, v[10:13] offset:13728
	ds_write_b128 v255, v[14:17] offset:1872
	ds_write_b128 v255, v[18:21] offset:8736
	ds_write_b128 v255, v[22:25] offset:15600
	ds_write_b128 v255, v[26:29] offset:3744
	ds_write_b128 v255, v[30:33] offset:10608
	ds_write_b128 v255, v[34:37] offset:17472
	s_and_saveexec_b64 s[2:3], s[0:1]
	s_cbranch_execz .LBB0_3
; %bb.2:
	buffer_load_dword v8, off, s[56:59], 0 offset:4 ; 4-byte Folded Reload
	buffer_load_dword v9, off, s[56:59], 0 offset:24 ; 4-byte Folded Reload
	v_mov_b32_e32 v6, s19
	v_add_co_u32_e32 v12, vcc, s18, v4
	v_addc_co_u32_e32 v13, vcc, v5, v6, vcc
	v_mov_b32_e32 v18, s15
	global_load_dwordx4 v[4:7], v[12:13], off
	s_waitcnt vmcnt(2)
	v_add_co_u32_e32 v8, vcc, 0x1000, v8
	s_waitcnt vmcnt(1)
	v_addc_co_u32_e32 v9, vcc, 0, v9, vcc
	v_add_co_u32_e32 v16, vcc, s14, v12
	global_load_dwordx4 v[8:11], v[8:9], off offset:1520
	v_addc_co_u32_e32 v17, vcc, v13, v18, vcc
	global_load_dwordx4 v[12:15], v[16:17], off
	v_add_co_u32_e32 v28, vcc, s14, v16
	v_addc_co_u32_e32 v29, vcc, v17, v18, vcc
	global_load_dwordx4 v[16:19], v[0:1], off offset:192
	global_load_dwordx4 v[20:23], v[2:3], off offset:2960
	global_load_dwordx4 v[24:27], v[28:29], off
	s_waitcnt vmcnt(4)
	v_mul_f64 v[0:1], v[6:7], v[10:11]
	v_mul_f64 v[2:3], v[4:5], v[10:11]
	s_waitcnt vmcnt(2)
	v_mul_f64 v[10:11], v[14:15], v[18:19]
	v_mul_f64 v[18:19], v[12:13], v[18:19]
	;; [unrolled: 3-line block ×3, first 2 shown]
	v_fma_f64 v[0:1], v[4:5], v[8:9], v[0:1]
	v_fma_f64 v[2:3], v[6:7], v[8:9], -v[2:3]
	v_fma_f64 v[4:5], v[12:13], v[16:17], v[10:11]
	v_fma_f64 v[6:7], v[14:15], v[16:17], -v[18:19]
	;; [unrolled: 2-line block ×3, first 2 shown]
	ds_write_b128 v255, v[0:3] offset:5616
	ds_write_b128 v255, v[4:7] offset:12480
	;; [unrolled: 1-line block ×3, first 2 shown]
.LBB0_3:
	s_or_b64 exec, exec, s[2:3]
	s_waitcnt vmcnt(0) lgkmcnt(0)
	s_barrier
	ds_read_b128 v[36:39], v255
	ds_read_b128 v[54:57], v255 offset:1872
	ds_read_b128 v[82:85], v255 offset:13728
	;; [unrolled: 1-line block ×8, first 2 shown]
                                        ; implicit-def: $vgpr48_vgpr49
                                        ; implicit-def: $vgpr66_vgpr67
                                        ; implicit-def: $vgpr70_vgpr71
	s_and_saveexec_b64 s[2:3], s[0:1]
	s_cbranch_execz .LBB0_5
; %bb.4:
	ds_read_b128 v[48:51], v255 offset:5616
	ds_read_b128 v[66:69], v255 offset:12480
	;; [unrolled: 1-line block ×3, first 2 shown]
.LBB0_5:
	s_or_b64 exec, exec, s[2:3]
	s_waitcnt lgkmcnt(4)
	v_add_f64 v[0:1], v[86:87], v[82:83]
	v_add_f64 v[2:3], v[36:37], v[86:87]
	v_add_f64 v[4:5], v[88:89], -v[84:85]
	v_add_f64 v[6:7], v[88:89], v[84:85]
	s_movk_i32 s2, 0x75
	v_add_co_u32_e32 v169, vcc, s2, v90
	s_movk_i32 s2, 0xea
	v_fma_f64 v[0:1], v[0:1], -0.5, v[36:37]
	v_add_f64 v[36:37], v[2:3], v[82:83]
	v_add_f64 v[2:3], v[38:39], v[88:89]
	v_add_co_u32_e32 v168, vcc, s2, v90
	s_movk_i32 s2, 0x15f
	v_add_co_u32_e32 v214, vcc, s2, v90
	s_mov_b32 s2, 0xe8584caa
	s_mov_b32 s3, 0x3febb67a
	;; [unrolled: 1-line block ×3, first 2 shown]
	s_waitcnt lgkmcnt(2)
	v_add_f64 v[8:9], v[78:79], v[74:75]
	s_mov_b32 s14, s2
	v_fma_f64 v[40:41], v[4:5], s[2:3], v[0:1]
	v_fma_f64 v[6:7], v[6:7], -0.5, v[38:39]
	v_add_f64 v[10:11], v[86:87], -v[82:83]
	v_fma_f64 v[52:53], v[4:5], s[14:15], v[0:1]
	v_add_f64 v[38:39], v[2:3], v[84:85]
	v_add_f64 v[0:1], v[80:81], v[76:77]
	;; [unrolled: 1-line block ×3, first 2 shown]
	v_fma_f64 v[4:5], v[8:9], -0.5, v[54:55]
	v_add_f64 v[8:9], v[80:81], -v[76:77]
	s_waitcnt lgkmcnt(0)
	v_add_f64 v[12:13], v[62:63], v[44:45]
	v_fma_f64 v[42:43], v[10:11], s[14:15], v[6:7]
	v_fma_f64 v[54:55], v[10:11], s[2:3], v[6:7]
	v_add_f64 v[6:7], v[56:57], v[80:81]
	v_fma_f64 v[0:1], v[0:1], -0.5, v[56:57]
	v_add_f64 v[10:11], v[78:79], -v[74:75]
	v_add_f64 v[56:57], v[2:3], v[74:75]
	v_add_f64 v[2:3], v[58:59], v[62:63]
	v_fma_f64 v[96:97], v[8:9], s[2:3], v[4:5]
	v_fma_f64 v[104:105], v[8:9], s[14:15], v[4:5]
	v_add_f64 v[4:5], v[64:65], v[46:47]
	v_fma_f64 v[12:13], v[12:13], -0.5, v[58:59]
	v_add_f64 v[14:15], v[64:65], -v[46:47]
	v_fma_f64 v[98:99], v[10:11], s[14:15], v[0:1]
	v_fma_f64 v[106:107], v[10:11], s[2:3], v[0:1]
	v_add_f64 v[108:109], v[2:3], v[44:45]
	v_add_f64 v[0:1], v[66:67], v[70:71]
	;; [unrolled: 1-line block ×5, first 2 shown]
	v_fma_f64 v[4:5], v[4:5], -0.5, v[60:61]
	v_add_f64 v[8:9], v[62:63], -v[44:45]
	v_fma_f64 v[112:113], v[14:15], s[2:3], v[12:13]
	v_fma_f64 v[116:117], v[14:15], s[14:15], v[12:13]
	v_add_f64 v[10:11], v[48:49], v[66:67]
	v_fma_f64 v[0:1], v[0:1], -0.5, v[48:49]
	v_add_f64 v[12:13], v[68:69], -v[72:73]
	v_add_f64 v[14:15], v[50:51], v[68:69]
	v_fma_f64 v[2:3], v[2:3], -0.5, v[50:51]
	v_add_f64 v[16:17], v[66:67], -v[70:71]
	v_add_f64 v[110:111], v[6:7], v[46:47]
	v_fma_f64 v[118:119], v[8:9], s[2:3], v[4:5]
	v_fma_f64 v[114:115], v[8:9], s[14:15], v[4:5]
	v_add_f64 v[120:121], v[10:11], v[70:71]
	v_fma_f64 v[124:125], v[12:13], s[2:3], v[0:1]
	v_fma_f64 v[128:129], v[12:13], s[14:15], v[0:1]
	v_add_f64 v[122:123], v[14:15], v[72:73]
	v_fma_f64 v[126:127], v[16:17], s[14:15], v[2:3]
	v_fma_f64 v[130:131], v[16:17], s[2:3], v[2:3]
	v_mul_lo_u16_e32 v0, 3, v90
	v_lshlrev_b32_e32 v0, 4, v0
	s_load_dwordx2 s[4:5], s[4:5], 0x8
	s_waitcnt lgkmcnt(0)
	s_barrier
	ds_write_b128 v0, v[36:39]
	ds_write_b128 v0, v[40:43] offset:16
	buffer_store_dword v0, off, s[56:59], 0 offset:220 ; 4-byte Folded Spill
	ds_write_b128 v0, v[52:55] offset:32
	v_mul_u32_u24_e32 v0, 3, v169
	v_lshlrev_b32_e32 v0, 4, v0
	ds_write_b128 v0, v[56:59]
	ds_write_b128 v0, v[96:99] offset:16
	buffer_store_dword v0, off, s[56:59], 0 offset:228 ; 4-byte Folded Spill
	ds_write_b128 v0, v[104:107] offset:32
	v_mul_u32_u24_e32 v0, 3, v168
	v_lshlrev_b32_e32 v0, 4, v0
	ds_write_b128 v0, v[108:111]
	ds_write_b128 v0, v[112:115] offset:16
	buffer_store_dword v0, off, s[56:59], 0 offset:236 ; 4-byte Folded Spill
	ds_write_b128 v0, v[116:119] offset:32
	v_mul_u32_u24_e32 v0, 3, v214
	buffer_store_dword v0, off, s[56:59], 0 offset:292 ; 4-byte Folded Spill
	s_and_saveexec_b64 s[2:3], s[0:1]
	s_cbranch_execz .LBB0_7
; %bb.6:
	v_mul_u32_u24_e32 v0, 3, v214
	v_lshlrev_b32_e32 v0, 4, v0
	ds_write_b128 v0, v[120:123]
	ds_write_b128 v0, v[124:127] offset:16
	ds_write_b128 v0, v[128:131] offset:32
.LBB0_7:
	s_or_b64 exec, exec, s[2:3]
	s_movk_i32 s2, 0x63
	v_cmp_gt_u16_e64 s[2:3], s2, v90
	s_waitcnt vmcnt(0) lgkmcnt(0)
	s_barrier
	s_waitcnt lgkmcnt(0)
                                        ; implicit-def: $vgpr132_vgpr133
	s_and_saveexec_b64 s[14:15], s[2:3]
	s_cbranch_execz .LBB0_9
; %bb.8:
	ds_read_b128 v[36:39], v255
	ds_read_b128 v[40:43], v255 offset:1584
	ds_read_b128 v[52:55], v255 offset:3168
	;; [unrolled: 1-line block ×12, first 2 shown]
.LBB0_9:
	s_or_b64 exec, exec, s[14:15]
	s_movk_i32 s14, 0xab
	v_mul_lo_u16_sdwa v0, v90, s14 dst_sel:DWORD dst_unused:UNUSED_PAD src0_sel:BYTE_0 src1_sel:DWORD
	v_lshrrev_b16_e32 v162, 9, v0
	v_mul_lo_u16_e32 v0, 3, v162
	v_sub_u16_e32 v0, v90, v0
	v_and_b32_e32 v0, 0xff, v0
	buffer_store_dword v0, off, s[56:59], 0 offset:180 ; 4-byte Folded Spill
	v_mul_u32_u24_e32 v0, 12, v0
	buffer_store_dword v90, off, s[56:59], 0 ; 4-byte Folded Spill
	v_lshlrev_b32_e32 v0, 4, v0
	global_load_dwordx4 v[100:103], v0, s[4:5]
	global_load_dwordx4 v[80:83], v0, s[4:5] offset:16
	global_load_dwordx4 v[68:71], v0, s[4:5] offset:32
	;; [unrolled: 1-line block ×11, first 2 shown]
	s_mov_b32 s20, 0x4267c47c
	s_mov_b32 s21, 0xbfddbe06
	;; [unrolled: 1-line block ×36, first 2 shown]
	s_waitcnt vmcnt(11) lgkmcnt(11)
	v_mul_f64 v[0:1], v[42:43], v[102:103]
	v_mul_f64 v[2:3], v[40:41], v[102:103]
	s_waitcnt vmcnt(10) lgkmcnt(10)
	v_mul_f64 v[4:5], v[54:55], v[82:83]
	v_mul_f64 v[6:7], v[52:53], v[82:83]
	;; [unrolled: 3-line block ×3, first 2 shown]
	s_waitcnt vmcnt(7) lgkmcnt(7)
	v_mul_f64 v[16:17], v[106:107], v[90:91]
	s_waitcnt vmcnt(4) lgkmcnt(0)
	v_mul_f64 v[28:29], v[132:133], v[46:47]
	v_mul_f64 v[34:35], v[134:135], v[46:47]
	v_fma_f64 v[154:155], v[40:41], v[100:101], -v[0:1]
	s_waitcnt vmcnt(2)
	v_mul_f64 v[32:33], v[128:129], v[66:67]
	v_fma_f64 v[160:161], v[42:43], v[100:101], v[2:3]
	v_mul_f64 v[18:19], v[104:105], v[90:91]
	v_mul_f64 v[163:164], v[130:131], v[66:67]
	s_waitcnt vmcnt(0)
	v_mul_f64 v[172:173], v[124:125], v[86:87]
	v_fma_f64 v[40:41], v[134:135], v[44:45], v[28:29]
	buffer_store_dword v44, off, s[56:59], 0 offset:204 ; 4-byte Folded Spill
	s_nop 0
	buffer_store_dword v45, off, s[56:59], 0 offset:208 ; 4-byte Folded Spill
	buffer_store_dword v46, off, s[56:59], 0 offset:212 ; 4-byte Folded Spill
	;; [unrolled: 1-line block ×3, first 2 shown]
	v_fma_f64 v[150:151], v[52:53], v[80:81], -v[4:5]
	v_fma_f64 v[52:53], v[54:55], v[80:81], v[6:7]
	v_fma_f64 v[54:55], v[130:131], v[64:65], v[32:33]
	v_mul_f64 v[12:13], v[98:99], v[50:51]
	v_mul_f64 v[14:15], v[96:97], v[50:51]
	;; [unrolled: 1-line block ×3, first 2 shown]
	v_add_f64 v[247:248], v[160:161], -v[40:41]
	v_mul_f64 v[22:23], v[108:109], v[78:79]
	v_mul_f64 v[26:27], v[112:113], v[62:63]
	v_mul_f64 v[165:166], v[120:121], v[94:95]
	v_mul_f64 v[170:171], v[126:127], v[86:87]
	v_fma_f64 v[152:153], v[56:57], v[68:69], -v[8:9]
	v_fma_f64 v[56:57], v[58:59], v[68:69], v[10:11]
	v_fma_f64 v[146:147], v[104:105], v[88:89], -v[16:17]
	v_fma_f64 v[104:105], v[106:107], v[88:89], v[18:19]
	;; [unrolled: 2-line block ×3, first 2 shown]
	v_add_f64 v[241:242], v[52:53], -v[54:55]
	v_mul_f64 v[130:131], v[247:248], s[20:21]
	v_mul_f64 v[24:25], v[114:115], v[62:63]
	;; [unrolled: 1-line block ×4, first 2 shown]
	v_fma_f64 v[148:149], v[96:97], v[48:49], -v[12:13]
	v_fma_f64 v[96:97], v[98:99], v[48:49], v[14:15]
	v_fma_f64 v[144:145], v[108:109], v[76:77], -v[20:21]
	v_fma_f64 v[108:109], v[110:111], v[76:77], v[22:23]
	v_fma_f64 v[142:143], v[114:115], v[60:61], v[26:27]
	;; [unrolled: 1-line block ×3, first 2 shown]
	v_fma_f64 v[98:99], v[124:125], v[84:85], -v[170:171]
	v_add_f64 v[8:9], v[150:151], v[58:59]
	v_add_f64 v[22:23], v[160:161], v[40:41]
	v_add_f64 v[233:234], v[150:151], -v[58:59]
	v_add_f64 v[26:27], v[56:57], -v[106:107]
	v_mul_f64 v[170:171], v[241:242], s[18:19]
	v_mul_f64 v[30:31], v[118:119], v[74:75]
	v_fma_f64 v[140:141], v[112:113], v[60:61], -v[24:25]
	v_fma_f64 v[138:139], v[118:119], v[72:73], v[156:157]
	v_fma_f64 v[110:111], v[120:121], v[92:93], -v[158:159]
	v_add_f64 v[10:11], v[52:53], v[54:55]
	v_add_f64 v[227:228], v[152:153], v[98:99]
	v_add_f64 v[231:232], v[152:153], -v[98:99]
	v_add_f64 v[24:25], v[96:97], -v[134:135]
	v_mul_f64 v[178:179], v[233:234], s[18:19]
	v_mul_f64 v[174:175], v[26:27], s[38:39]
	v_fma_f64 v[14:15], v[8:9], s[22:23], v[170:171]
	v_fma_f64 v[136:137], v[116:117], v[72:73], -v[30:31]
	v_add_f64 v[229:230], v[56:57], v[106:107]
	v_add_f64 v[210:211], v[148:149], v[110:111]
	v_add_f64 v[20:21], v[148:149], -v[110:111]
	v_add_f64 v[239:240], v[104:105], -v[138:139]
	v_mul_f64 v[182:183], v[231:232], s[38:39]
	v_fma_f64 v[18:19], v[10:11], s[22:23], -v[178:179]
	v_mul_f64 v[172:173], v[24:25], s[28:29]
	v_fma_f64 v[28:29], v[227:228], s[24:25], v[174:175]
	v_add_f64 v[212:213], v[96:97], v[134:135]
	v_add_f64 v[4:5], v[146:147], v[136:137]
	v_add_f64 v[12:13], v[146:147], -v[136:137]
	v_add_f64 v[202:203], v[108:109], -v[142:143]
	v_mul_f64 v[180:181], v[20:21], s[28:29]
	v_mul_f64 v[158:159], v[239:240], s[40:41]
	v_fma_f64 v[30:31], v[229:230], s[24:25], -v[182:183]
	v_add_f64 v[6:7], v[104:105], v[138:139]
	v_add_f64 v[194:195], v[144:145], v[140:141]
	v_mul_f64 v[184:185], v[247:248], s[18:19]
	v_mul_f64 v[176:177], v[12:13], s[40:41]
	;; [unrolled: 1-line block ×5, first 2 shown]
	v_add_f64 v[237:238], v[144:145], -v[140:141]
	v_add_f64 v[208:209], v[108:109], v[142:143]
	v_mul_f64 v[120:121], v[202:203], s[40:41]
	v_mul_f64 v[215:216], v[247:248], s[38:39]
	;; [unrolled: 1-line block ×4, first 2 shown]
	v_fma_f64 v[112:113], v[8:9], s[26:27], v[186:187]
	v_mul_f64 v[219:220], v[241:242], s[44:45]
	v_fma_f64 v[42:43], v[132:133], v[44:45], -v[34:35]
	v_mul_f64 v[165:166], v[237:238], s[44:45]
	v_mul_f64 v[122:123], v[237:238], s[40:41]
	;; [unrolled: 1-line block ×3, first 2 shown]
	v_fma_f64 v[114:115], v[227:228], s[34:35], v[188:189]
	v_mul_f64 v[204:205], v[26:27], s[48:49]
	v_mul_f64 v[196:197], v[239:240], s[50:51]
	v_fma_f64 v[116:117], v[8:9], s[34:35], v[219:220]
	v_add_f64 v[16:17], v[154:155], v[42:43]
	v_add_f64 v[235:236], v[154:155], -v[42:43]
	v_fma_f64 v[34:35], v[208:209], s[34:35], -v[165:166]
	v_mul_f64 v[217:218], v[24:25], s[46:47]
	v_mul_f64 v[221:222], v[12:13], s[50:51]
	;; [unrolled: 1-line block ×5, first 2 shown]
	v_fma_f64 v[0:1], v[16:17], s[14:15], v[130:131]
	v_mul_f64 v[132:133], v[235:236], s[20:21]
	v_mul_f64 v[206:207], v[235:236], s[18:19]
	v_fma_f64 v[32:33], v[16:17], s[22:23], v[184:185]
	v_mul_f64 v[243:244], v[247:248], s[28:29]
	v_mul_f64 v[128:129], v[235:236], s[28:29]
	;; [unrolled: 1-line block ×4, first 2 shown]
	v_add_f64 v[0:1], v[36:37], v[0:1]
	v_fma_f64 v[2:3], v[22:23], s[14:15], -v[132:133]
	v_mul_f64 v[251:252], v[12:13], s[52:53]
	v_add_f64 v[32:33], v[36:37], v[32:33]
	v_fma_f64 v[163:164], v[16:17], s[26:27], v[243:244]
	v_mul_f64 v[249:250], v[237:238], s[54:55]
	v_add_f64 v[0:1], v[14:15], v[0:1]
	v_add_f64 v[2:3], v[38:39], v[2:3]
	v_fma_f64 v[14:15], v[210:211], s[26:27], v[172:173]
	v_add_f64 v[32:33], v[112:113], v[32:33]
	v_add_f64 v[0:1], v[28:29], v[0:1]
	;; [unrolled: 1-line block ×3, first 2 shown]
	v_fma_f64 v[18:19], v[212:213], s[26:27], -v[180:181]
	v_fma_f64 v[28:29], v[4:5], s[30:31], v[158:159]
	v_add_f64 v[32:33], v[114:115], v[32:33]
	v_fma_f64 v[114:115], v[212:213], s[30:31], -v[200:201]
	v_add_f64 v[0:1], v[14:15], v[0:1]
	v_add_f64 v[2:3], v[30:31], v[2:3]
	v_fma_f64 v[30:31], v[6:7], s[30:31], -v[176:177]
	v_fma_f64 v[14:15], v[22:23], s[22:23], -v[206:207]
	v_add_f64 v[28:29], v[28:29], v[0:1]
	v_add_f64 v[2:3], v[18:19], v[2:3]
	v_fma_f64 v[18:19], v[194:195], s[34:35], v[156:157]
	v_add_f64 v[14:15], v[38:39], v[14:15]
	v_mul_f64 v[0:1], v[231:232], s[48:49]
	v_add_f64 v[2:3], v[30:31], v[2:3]
	v_fma_f64 v[30:31], v[10:11], s[26:27], -v[190:191]
	v_add_f64 v[44:45], v[18:19], v[28:29]
	v_mul_f64 v[18:19], v[235:236], s[38:39]
	v_add_f64 v[46:47], v[34:35], v[2:3]
	v_add_f64 v[28:29], v[30:31], v[14:15]
	v_mul_f64 v[14:15], v[233:234], s[44:45]
	v_fma_f64 v[112:113], v[22:23], s[24:25], -v[18:19]
	buffer_store_dword v44, off, s[56:59], 0 offset:8 ; 4-byte Folded Spill
	s_nop 0
	buffer_store_dword v45, off, s[56:59], 0 offset:12 ; 4-byte Folded Spill
	buffer_store_dword v46, off, s[56:59], 0 offset:16 ; 4-byte Folded Spill
	;; [unrolled: 1-line block ×3, first 2 shown]
	v_fma_f64 v[34:35], v[16:17], s[24:25], v[215:216]
	v_fma_f64 v[118:119], v[10:11], s[34:35], -v[14:15]
	v_add_f64 v[112:113], v[38:39], v[112:113]
	v_fma_f64 v[30:31], v[229:230], s[34:35], -v[192:193]
	v_mul_f64 v[45:46], v[24:25], s[42:43]
	v_mul_f64 v[2:3], v[20:21], s[46:47]
	v_mul_u32_u24_e32 v44, 39, v162
	v_add_f64 v[34:35], v[36:37], v[34:35]
	v_add_f64 v[112:113], v[118:119], v[112:113]
	v_fma_f64 v[118:119], v[229:230], s[26:27], -v[0:1]
	v_add_f64 v[28:29], v[30:31], v[28:29]
	v_fma_f64 v[30:31], v[210:211], s[30:31], v[45:46]
	v_add_f64 v[34:35], v[116:117], v[34:35]
	v_fma_f64 v[116:117], v[227:228], s[26:27], v[204:205]
	v_add_f64 v[112:113], v[118:119], v[112:113]
	v_mul_f64 v[118:119], v[12:13], s[18:19]
	buffer_store_dword v118, off, s[56:59], 0 offset:196 ; 4-byte Folded Spill
	s_nop 0
	buffer_store_dword v119, off, s[56:59], 0 offset:200 ; 4-byte Folded Spill
	buffer_store_dword v120, off, s[56:59], 0 offset:188 ; 4-byte Folded Spill
	s_nop 0
	buffer_store_dword v121, off, s[56:59], 0 offset:192 ; 4-byte Folded Spill
	;; [unrolled: 3-line block ×3, first 2 shown]
	v_add_f64 v[30:31], v[30:31], v[32:33]
	v_add_f64 v[28:29], v[114:115], v[28:29]
	v_fma_f64 v[32:33], v[4:5], s[24:25], v[196:197]
	v_add_f64 v[34:35], v[116:117], v[34:35]
	v_fma_f64 v[114:115], v[210:211], s[14:15], v[217:218]
	v_fma_f64 v[116:117], v[212:213], s[14:15], -v[2:3]
	s_waitcnt vmcnt(0)
	s_barrier
	buffer_store_dword v44, off, s[56:59], 0 offset:184 ; 4-byte Folded Spill
	v_add_f64 v[30:31], v[32:33], v[30:31]
	v_fma_f64 v[32:33], v[6:7], s[24:25], -v[221:222]
	v_add_f64 v[34:35], v[114:115], v[34:35]
	v_add_f64 v[112:113], v[116:117], v[112:113]
	v_fma_f64 v[114:115], v[4:5], s[22:23], v[223:224]
	v_add_f64 v[28:29], v[32:33], v[28:29]
	v_fma_f64 v[32:33], v[194:195], s[14:15], v[198:199]
	v_add_f64 v[114:115], v[114:115], v[34:35]
	v_mul_f64 v[34:35], v[241:242], s[42:43]
	v_add_f64 v[124:125], v[32:33], v[30:31]
	v_fma_f64 v[32:33], v[22:23], s[26:27], -v[128:129]
	v_fma_f64 v[30:31], v[8:9], s[30:31], v[34:35]
	v_fma_f64 v[116:117], v[6:7], s[22:23], -v[118:119]
	v_fma_f64 v[118:119], v[208:209], s[14:15], -v[225:226]
	;; [unrolled: 1-line block ×3, first 2 shown]
	v_add_f64 v[112:113], v[116:117], v[112:113]
	v_fma_f64 v[116:117], v[194:195], s[30:31], v[120:121]
	v_add_f64 v[126:127], v[118:119], v[28:29]
	v_add_f64 v[28:29], v[36:37], v[163:164]
	;; [unrolled: 1-line block ×4, first 2 shown]
	v_mul_f64 v[114:115], v[233:234], s[42:43]
	v_add_f64 v[28:29], v[30:31], v[28:29]
	v_add_f64 v[30:31], v[38:39], v[32:33]
	v_mul_f64 v[112:113], v[231:232], s[46:47]
	v_fma_f64 v[32:33], v[10:11], s[30:31], -v[114:115]
	v_add_f64 v[30:31], v[32:33], v[30:31]
	v_fma_f64 v[32:33], v[227:228], s[14:15], v[245:246]
	v_add_f64 v[28:29], v[32:33], v[28:29]
	v_fma_f64 v[32:33], v[229:230], s[14:15], -v[112:113]
	v_add_f64 v[30:31], v[32:33], v[30:31]
	v_mul_f64 v[32:33], v[24:25], s[38:39]
	v_fma_f64 v[116:117], v[210:211], s[24:25], v[32:33]
	v_add_f64 v[116:117], v[116:117], v[28:29]
	v_fma_f64 v[28:29], v[212:213], s[24:25], -v[253:254]
	v_add_f64 v[30:31], v[28:29], v[30:31]
	v_mul_f64 v[28:29], v[239:240], s[52:53]
	;; [unrolled: 5-line block ×3, first 2 shown]
	v_fma_f64 v[163:164], v[194:195], s[22:23], v[30:31]
	v_add_f64 v[116:117], v[163:164], v[116:117]
	v_fma_f64 v[163:164], v[208:209], s[22:23], -v[249:250]
	v_add_f64 v[118:119], v[163:164], v[118:119]
	s_and_saveexec_b64 s[36:37], s[2:3]
	s_cbranch_execz .LBB0_11
; %bb.10:
	buffer_store_dword v165, off, s[56:59], 0 offset:252 ; 4-byte Folded Spill
	s_nop 0
	buffer_store_dword v166, off, s[56:59], 0 offset:256 ; 4-byte Folded Spill
	v_mul_f64 v[162:163], v[22:23], s[34:35]
	v_mul_f64 v[164:165], v[247:248], s[44:45]
	buffer_store_dword v132, off, s[56:59], 0 offset:332 ; 4-byte Folded Spill
	s_nop 0
	buffer_store_dword v133, off, s[56:59], 0 offset:336 ; 4-byte Folded Spill
	buffer_store_dword v130, off, s[56:59], 0 offset:324 ; 4-byte Folded Spill
	s_nop 0
	buffer_store_dword v131, off, s[56:59], 0 offset:328 ; 4-byte Folded Spill
	;; [unrolled: 3-line block ×3, first 2 shown]
	v_mul_f64 v[132:133], v[10:11], s[14:15]
	v_mul_f64 v[166:167], v[241:242], s[46:47]
	buffer_store_dword v172, off, s[56:59], 0 offset:276 ; 4-byte Folded Spill
	s_nop 0
	buffer_store_dword v173, off, s[56:59], 0 offset:280 ; 4-byte Folded Spill
	v_fma_f64 v[130:131], v[235:236], s[52:53], v[162:163]
	v_fma_f64 v[170:171], v[16:17], s[34:35], v[164:165]
	buffer_store_dword v174, off, s[56:59], 0 offset:300 ; 4-byte Folded Spill
	s_nop 0
	buffer_store_dword v175, off, s[56:59], 0 offset:304 ; 4-byte Folded Spill
	buffer_store_dword v176, off, s[56:59], 0 offset:260 ; 4-byte Folded Spill
	s_nop 0
	buffer_store_dword v177, off, s[56:59], 0 offset:264 ; 4-byte Folded Spill
	;; [unrolled: 3-line block ×5, first 2 shown]
	v_mul_f64 v[174:175], v[229:230], s[30:31]
	v_mul_f64 v[176:177], v[26:27], s[40:41]
	v_fma_f64 v[180:181], v[233:234], s[20:21], v[132:133]
	v_add_f64 v[130:131], v[38:39], v[130:131]
	v_fma_f64 v[182:183], v[8:9], s[14:15], v[166:167]
	v_add_f64 v[170:171], v[36:37], v[170:171]
	buffer_store_dword v184, off, s[56:59], 0 offset:364 ; 4-byte Folded Spill
	s_nop 0
	buffer_store_dword v185, off, s[56:59], 0 offset:368 ; 4-byte Folded Spill
	buffer_store_dword v186, off, s[56:59], 0 offset:372 ; 4-byte Folded Spill
	s_nop 0
	buffer_store_dword v187, off, s[56:59], 0 offset:376 ; 4-byte Folded Spill
	;; [unrolled: 3-line block ×3, first 2 shown]
	v_mul_f64 v[184:185], v[212:213], s[22:23]
	v_mul_f64 v[186:187], v[24:25], s[54:55]
	v_fma_f64 v[162:163], v[235:236], s[44:45], v[162:163]
	v_fma_f64 v[44:45], v[231:232], s[42:43], v[174:175]
	v_fma_f64 v[46:47], v[16:17], s[34:35], -v[164:165]
	v_add_f64 v[130:131], v[180:181], v[130:131]
	v_fma_f64 v[164:165], v[227:228], s[30:31], v[176:177]
	v_add_f64 v[170:171], v[182:183], v[170:171]
	v_mul_f64 v[178:179], v[6:7], s[26:27]
	v_mul_f64 v[180:181], v[239:240], s[28:29]
	v_fma_f64 v[132:133], v[233:234], s[46:47], v[132:133]
	v_add_f64 v[162:163], v[38:39], v[162:163]
	v_fma_f64 v[166:167], v[8:9], s[14:15], -v[166:167]
	v_add_f64 v[46:47], v[36:37], v[46:47]
	v_add_f64 v[44:45], v[44:45], v[130:131]
	v_fma_f64 v[130:131], v[20:21], s[18:19], v[184:185]
	v_add_f64 v[164:165], v[164:165], v[170:171]
	v_fma_f64 v[170:171], v[210:211], s[22:23], v[186:187]
	v_mul_f64 v[172:173], v[208:209], s[24:25]
	v_fma_f64 v[174:175], v[231:232], s[40:41], v[174:175]
	v_add_f64 v[132:133], v[132:133], v[162:163]
	v_mul_f64 v[182:183], v[202:203], s[50:51]
	v_add_f64 v[46:47], v[166:167], v[46:47]
	v_fma_f64 v[162:163], v[12:13], s[48:49], v[178:179]
	v_add_f64 v[44:45], v[130:131], v[44:45]
	v_fma_f64 v[130:131], v[4:5], s[26:27], v[180:181]
	v_add_f64 v[164:165], v[170:171], v[164:165]
	v_mul_f64 v[170:171], v[22:23], s[30:31]
	v_fma_f64 v[176:177], v[227:228], s[30:31], -v[176:177]
	v_mul_f64 v[166:167], v[10:11], s[24:25]
	v_add_f64 v[132:133], v[174:175], v[132:133]
	v_mul_f64 v[174:175], v[247:248], s[40:41]
	v_add_f64 v[44:45], v[162:163], v[44:45]
	v_fma_f64 v[162:163], v[237:238], s[38:39], v[172:173]
	v_add_f64 v[130:131], v[130:131], v[164:165]
	v_fma_f64 v[247:248], v[194:195], s[24:25], v[182:183]
	v_fma_f64 v[184:185], v[20:21], s[54:55], v[184:185]
	v_add_f64 v[46:47], v[176:177], v[46:47]
	v_fma_f64 v[176:177], v[235:236], s[42:43], v[170:171]
	v_mul_f64 v[241:242], v[241:242], s[50:51]
	v_fma_f64 v[186:187], v[210:211], s[22:23], -v[186:187]
	v_add_f64 v[164:165], v[162:163], v[44:45]
	v_fma_f64 v[44:45], v[16:17], s[30:31], v[174:175]
	v_add_f64 v[162:163], v[247:248], v[130:131]
	v_fma_f64 v[130:131], v[12:13], s[28:29], v[178:179]
	v_add_f64 v[132:133], v[184:185], v[132:133]
	v_mul_f64 v[178:179], v[229:230], s[22:23]
	v_fma_f64 v[184:185], v[233:234], s[38:39], v[166:167]
	v_add_f64 v[176:177], v[38:39], v[176:177]
	v_add_f64 v[46:47], v[186:187], v[46:47]
	v_fma_f64 v[186:187], v[8:9], s[24:25], v[241:242]
	v_add_f64 v[44:45], v[36:37], v[44:45]
	v_mul_f64 v[247:248], v[26:27], s[18:19]
	v_fma_f64 v[26:27], v[4:5], s[26:27], -v[180:181]
	v_add_f64 v[130:131], v[130:131], v[132:133]
	v_mul_f64 v[132:133], v[212:213], s[34:35]
	v_add_f64 v[176:177], v[184:185], v[176:177]
	v_fma_f64 v[180:181], v[231:232], s[54:55], v[178:179]
	v_fma_f64 v[172:173], v[237:238], s[50:51], v[172:173]
	v_add_f64 v[44:45], v[186:187], v[44:45]
	v_fma_f64 v[184:185], v[227:228], s[22:23], v[247:248]
	v_mul_f64 v[186:187], v[24:25], s[52:53]
	v_add_f64 v[24:25], v[26:27], v[46:47]
	v_mul_f64 v[46:47], v[6:7], s[14:15]
	buffer_store_dword v162, off, s[56:59], 0 offset:380 ; 4-byte Folded Spill
	s_nop 0
	buffer_store_dword v163, off, s[56:59], 0 offset:384 ; 4-byte Folded Spill
	buffer_store_dword v164, off, s[56:59], 0 offset:388 ; 4-byte Folded Spill
	;; [unrolled: 1-line block ×3, first 2 shown]
	v_add_f64 v[176:177], v[180:181], v[176:177]
	v_fma_f64 v[180:181], v[20:21], s[44:45], v[132:133]
	v_add_f64 v[164:165], v[172:173], v[130:131]
	v_add_f64 v[44:45], v[184:185], v[44:45]
	v_fma_f64 v[130:131], v[210:211], s[34:35], v[186:187]
	v_fma_f64 v[170:171], v[235:236], s[40:41], v[170:171]
	;; [unrolled: 1-line block ×3, first 2 shown]
	v_fma_f64 v[182:183], v[194:195], s[24:25], -v[182:183]
	v_fma_f64 v[166:167], v[233:234], s[50:51], v[166:167]
	v_add_f64 v[176:177], v[180:181], v[176:177]
	v_mul_f64 v[180:181], v[239:240], s[46:47]
	v_fma_f64 v[174:175], v[16:17], s[30:31], -v[174:175]
	v_add_f64 v[44:45], v[130:131], v[44:45]
	v_add_f64 v[170:171], v[38:39], v[170:171]
	v_mul_f64 v[130:131], v[22:23], s[22:23]
	v_add_f64 v[162:163], v[182:183], v[24:25]
	v_mul_f64 v[182:183], v[22:23], s[14:15]
	v_add_f64 v[176:177], v[184:185], v[176:177]
	v_fma_f64 v[184:185], v[4:5], s[14:15], v[180:181]
	v_fma_f64 v[178:179], v[231:232], s[18:19], v[178:179]
	v_mul_f64 v[231:232], v[22:23], s[24:25]
	v_mul_f64 v[22:23], v[22:23], s[26:27]
	v_add_f64 v[166:167], v[166:167], v[170:171]
	v_add_f64 v[174:175], v[36:37], v[174:175]
	v_fma_f64 v[20:21], v[20:21], s[52:53], v[132:133]
	v_mul_f64 v[172:173], v[16:17], s[14:15]
	v_add_f64 v[44:45], v[184:185], v[44:45]
	v_fma_f64 v[184:185], v[8:9], s[24:25], -v[241:242]
	v_fma_f64 v[241:242], v[227:228], s[22:23], -v[247:248]
	v_add_f64 v[22:23], v[128:129], v[22:23]
	v_add_f64 v[166:167], v[178:179], v[166:167]
	v_mul_f64 v[128:129], v[10:11], s[30:31]
	v_mul_f64 v[235:236], v[16:17], s[22:23]
	;; [unrolled: 1-line block ×4, first 2 shown]
	v_add_f64 v[174:175], v[184:185], v[174:175]
	v_mul_f64 v[170:171], v[208:209], s[26:27]
	v_add_f64 v[22:23], v[38:39], v[22:23]
	v_add_f64 v[20:21], v[20:21], v[166:167]
	;; [unrolled: 1-line block ×3, first 2 shown]
	v_mul_f64 v[239:240], v[8:9], s[22:23]
	v_fma_f64 v[12:13], v[12:13], s[46:47], v[46:47]
	v_mul_f64 v[46:47], v[8:9], s[34:35]
	v_add_f64 v[166:167], v[241:242], v[174:175]
	v_mul_f64 v[241:242], v[229:230], s[14:15]
	v_fma_f64 v[178:179], v[237:238], s[48:49], v[170:171]
	v_fma_f64 v[170:171], v[237:238], s[28:29], v[170:171]
	v_mul_f64 v[237:238], v[8:9], s[26:27]
	v_mul_f64 v[8:9], v[8:9], s[30:31]
	v_fma_f64 v[174:175], v[210:211], s[34:35], -v[186:187]
	v_add_f64 v[22:23], v[114:115], v[22:23]
	v_add_f64 v[16:17], v[16:17], -v[243:244]
	v_add_f64 v[112:113], v[112:113], v[241:242]
	v_mul_f64 v[241:242], v[212:213], s[24:25]
	v_mul_f64 v[186:187], v[227:228], s[24:25]
	v_add_f64 v[12:13], v[12:13], v[20:21]
	v_mul_f64 v[20:21], v[227:228], s[34:35]
	v_add_f64 v[166:167], v[174:175], v[166:167]
	v_mul_f64 v[114:115], v[227:228], s[26:27]
	v_fma_f64 v[180:181], v[4:5], s[14:15], -v[180:181]
	v_mul_f64 v[227:228], v[227:228], s[14:15]
	v_add_f64 v[241:242], v[253:254], v[241:242]
	v_mul_f64 v[247:248], v[6:7], s[34:35]
	v_add_f64 v[22:23], v[112:113], v[22:23]
	v_add_f64 v[8:9], v[8:9], -v[34:35]
	v_add_f64 v[16:17], v[36:37], v[16:17]
	v_mul_f64 v[243:244], v[210:211], s[26:27]
	v_add_f64 v[166:167], v[180:181], v[166:167]
	v_mul_f64 v[180:181], v[210:211], s[30:31]
	v_add_f64 v[227:228], v[227:228], -v[245:246]
	v_add_f64 v[247:248], v[251:252], v[247:248]
	v_mul_f64 v[251:252], v[208:209], s[22:23]
	v_mul_f64 v[245:246], v[210:211], s[14:15]
	;; [unrolled: 1-line block ×3, first 2 shown]
	v_add_f64 v[8:9], v[8:9], v[16:17]
	v_add_f64 v[22:23], v[241:242], v[22:23]
	v_mul_f64 v[132:133], v[10:11], s[22:23]
	v_mul_f64 v[184:185], v[10:11], s[26:27]
	;; [unrolled: 1-line block ×3, first 2 shown]
	v_add_f64 v[249:250], v[249:250], v[251:252]
	v_add_f64 v[18:19], v[18:19], v[231:232]
	v_add_f64 v[32:33], v[210:211], -v[32:33]
	v_add_f64 v[8:9], v[227:228], v[8:9]
	v_mul_f64 v[227:228], v[4:5], s[34:35]
	v_add_f64 v[22:23], v[247:248], v[22:23]
	v_mul_f64 v[128:129], v[229:230], s[24:25]
	v_mul_f64 v[174:175], v[229:230], s[34:35]
	;; [unrolled: 1-line block ×3, first 2 shown]
	v_add_f64 v[10:11], v[14:15], v[10:11]
	v_add_f64 v[18:19], v[38:39], v[18:19]
	;; [unrolled: 1-line block ×3, first 2 shown]
	v_add_f64 v[28:29], v[227:228], -v[28:29]
	v_add_f64 v[8:9], v[170:171], v[12:13]
	v_add_f64 v[12:13], v[249:250], v[22:23]
	;; [unrolled: 1-line block ×5, first 2 shown]
	v_mul_f64 v[112:113], v[212:213], s[26:27]
	v_mul_f64 v[34:35], v[212:213], s[30:31]
	;; [unrolled: 1-line block ×3, first 2 shown]
	v_add_f64 v[160:161], v[28:29], v[32:33]
	v_add_f64 v[28:29], v[0:1], v[229:230]
	v_add_f64 v[0:1], v[233:234], -v[215:216]
	v_add_f64 v[10:11], v[10:11], v[18:19]
	v_add_f64 v[18:19], v[190:191], v[184:185]
	;; [unrolled: 1-line block ×6, first 2 shown]
	v_add_f64 v[2:3], v[46:47], -v[219:220]
	v_add_f64 v[0:1], v[36:37], v[0:1]
	v_add_f64 v[10:11], v[28:29], v[10:11]
	v_add_f64 v[28:29], v[192:193], v[174:175]
	v_add_f64 v[18:19], v[18:19], v[22:23]
	v_add_f64 v[22:23], v[32:33], v[56:57]
	v_add_f64 v[32:33], v[130:131], v[152:153]
	buffer_load_dword v46, off, s[56:59], 0 offset:196 ; 4-byte Folded Reload
	buffer_load_dword v47, off, s[56:59], 0 offset:200 ; 4-byte Folded Reload
	v_mul_f64 v[14:15], v[208:209], s[14:15]
	v_add_f64 v[0:1], v[2:3], v[0:1]
	v_add_f64 v[2:3], v[150:151], v[10:11]
	;; [unrolled: 1-line block ×6, first 2 shown]
	v_mov_b32_e32 v26, v225
	v_mov_b32_e32 v27, v226
	buffer_load_dword v32, off, s[56:59], 0 offset:244 ; 4-byte Folded Reload
	buffer_load_dword v33, off, s[56:59], 0 offset:248 ; 4-byte Folded Reload
	v_add_f64 v[14:15], v[26:27], v[14:15]
	v_mul_f64 v[241:242], v[6:7], s[30:31]
	v_add_f64 v[10:11], v[10:11], v[18:19]
	v_add_f64 v[18:19], v[22:23], v[104:105]
	v_add_f64 v[22:23], v[28:29], v[146:147]
	buffer_load_dword v28, off, s[56:59], 0 offset:188 ; 4-byte Folded Reload
	buffer_load_dword v29, off, s[56:59], 0 offset:192 ; 4-byte Folded Reload
	;; [unrolled: 1-line block ×4, first 2 shown]
	v_mul_f64 v[210:211], v[6:7], s[24:25]
	v_mul_f64 v[6:7], v[6:7], s[22:23]
	;; [unrolled: 1-line block ×6, first 2 shown]
	v_add_f64 v[34:35], v[245:246], -v[217:218]
	v_add_f64 v[20:21], v[20:21], -v[188:189]
	v_mul_f64 v[202:203], v[202:203], s[28:29]
	v_mul_f64 v[247:248], v[194:195], s[34:35]
	;; [unrolled: 1-line block ×4, first 2 shown]
	v_add_f64 v[16:17], v[16:17], -v[158:159]
	v_add_f64 v[24:25], v[4:5], -v[30:31]
	v_mul_f64 v[30:31], v[194:195], s[30:31]
	v_add_f64 v[4:5], v[178:179], v[176:177]
	v_fma_f64 v[225:226], v[194:195], s[26:27], v[202:203]
	v_fma_f64 v[202:203], v[194:195], s[26:27], -v[202:203]
	v_mul_f64 v[194:195], v[208:209], s[30:31]
	v_add_f64 v[56:57], v[247:248], -v[156:157]
	s_waitcnt vmcnt(6)
	v_add_f64 v[6:7], v[46:47], v[6:7]
	v_add_f64 v[46:47], v[114:115], -v[204:205]
	v_add_f64 v[2:3], v[6:7], v[2:3]
	v_add_f64 v[6:7], v[221:222], v[210:211]
	;; [unrolled: 1-line block ×3, first 2 shown]
	s_waitcnt vmcnt(4)
	v_add_f64 v[32:33], v[32:33], v[194:195]
	s_waitcnt vmcnt(2)
	v_add_f64 v[46:47], v[30:31], -v[28:29]
	s_waitcnt vmcnt(0)
	v_add_f64 v[30:31], v[26:27], v[182:183]
	v_add_f64 v[6:7], v[6:7], v[10:11]
	;; [unrolled: 1-line block ×4, first 2 shown]
	buffer_load_dword v22, off, s[56:59], 0 offset:324 ; 4-byte Folded Reload
	buffer_load_dword v23, off, s[56:59], 0 offset:328 ; 4-byte Folded Reload
	;; [unrolled: 1-line block ×4, first 2 shown]
	v_add_f64 v[0:1], v[34:35], v[0:1]
	v_add_f64 v[28:29], v[253:254], -v[223:224]
	v_add_f64 v[30:31], v[38:39], v[30:31]
	v_add_f64 v[10:11], v[10:11], v[142:143]
	;; [unrolled: 1-line block ×12, first 2 shown]
	s_waitcnt vmcnt(2)
	v_add_f64 v[22:23], v[172:173], -v[22:23]
	s_waitcnt vmcnt(0)
	v_add_f64 v[34:35], v[235:236], -v[26:27]
	buffer_load_dword v26, off, s[56:59], 0 offset:372 ; 4-byte Folded Reload
	buffer_load_dword v27, off, s[56:59], 0 offset:376 ; 4-byte Folded Reload
	v_add_f64 v[22:23], v[36:37], v[22:23]
	v_add_f64 v[34:35], v[36:37], v[34:35]
	s_waitcnt vmcnt(0)
	v_add_f64 v[114:115], v[237:238], -v[26:27]
	buffer_load_dword v26, off, s[56:59], 0 offset:356 ; 4-byte Folded Reload
	buffer_load_dword v27, off, s[56:59], 0 offset:360 ; 4-byte Folded Reload
	v_add_f64 v[34:35], v[114:115], v[34:35]
	v_add_f64 v[20:21], v[20:21], v[34:35]
	v_add_f64 v[34:35], v[251:252], -v[196:197]
	s_waitcnt vmcnt(0)
	v_add_f64 v[130:131], v[26:27], v[132:133]
	buffer_load_dword v26, off, s[56:59], 0 offset:316 ; 4-byte Folded Reload
	buffer_load_dword v27, off, s[56:59], 0 offset:320 ; 4-byte Folded Reload
	v_add_f64 v[30:31], v[130:131], v[30:31]
	s_waitcnt vmcnt(0)
	v_add_f64 v[38:39], v[239:240], -v[26:27]
	buffer_load_dword v26, off, s[56:59], 0 offset:340 ; 4-byte Folded Reload
	buffer_load_dword v27, off, s[56:59], 0 offset:344 ; 4-byte Folded Reload
	v_add_f64 v[22:23], v[38:39], v[22:23]
	s_waitcnt vmcnt(0)
	v_add_f64 v[36:37], v[26:27], v[128:129]
	buffer_load_dword v26, off, s[56:59], 0 offset:300 ; 4-byte Folded Reload
	buffer_load_dword v27, off, s[56:59], 0 offset:304 ; 4-byte Folded Reload
	v_add_f64 v[30:31], v[36:37], v[30:31]
	s_waitcnt vmcnt(0)
	v_add_f64 v[108:109], v[186:187], -v[26:27]
	buffer_load_dword v26, off, s[56:59], 0 offset:348 ; 4-byte Folded Reload
	buffer_load_dword v27, off, s[56:59], 0 offset:352 ; 4-byte Folded Reload
	v_add_f64 v[22:23], v[108:109], v[22:23]
	s_waitcnt vmcnt(0)
	v_add_f64 v[38:39], v[180:181], -v[26:27]
	buffer_load_dword v26, off, s[56:59], 0 offset:308 ; 4-byte Folded Reload
	buffer_load_dword v27, off, s[56:59], 0 offset:312 ; 4-byte Folded Reload
	v_add_f64 v[20:21], v[38:39], v[20:21]
	v_add_f64 v[52:53], v[34:35], v[20:21]
	;; [unrolled: 1-line block ×7, first 2 shown]
	s_waitcnt vmcnt(0)
	v_add_f64 v[104:105], v[26:27], v[112:113]
	buffer_load_dword v26, off, s[56:59], 0 offset:276 ; 4-byte Folded Reload
	buffer_load_dword v27, off, s[56:59], 0 offset:280 ; 4-byte Folded Reload
	v_add_f64 v[30:31], v[104:105], v[30:31]
	s_waitcnt vmcnt(0)
	v_add_f64 v[36:37], v[243:244], -v[26:27]
	buffer_load_dword v26, off, s[56:59], 0 offset:260 ; 4-byte Folded Reload
	buffer_load_dword v27, off, s[56:59], 0 offset:264 ; 4-byte Folded Reload
	v_add_f64 v[22:23], v[36:37], v[22:23]
	v_add_f64 v[36:37], v[231:232], -v[198:199]
	v_add_f64 v[22:23], v[16:17], v[22:23]
	v_add_f64 v[16:17], v[32:33], v[2:3]
	;; [unrolled: 1-line block ×6, first 2 shown]
	s_waitcnt vmcnt(0)
	v_add_f64 v[96:97], v[26:27], v[241:242]
	buffer_load_dword v26, off, s[56:59], 0 offset:252 ; 4-byte Folded Reload
	buffer_load_dword v27, off, s[56:59], 0 offset:256 ; 4-byte Folded Reload
	;; [unrolled: 1-line block ×4, first 2 shown]
	v_add_f64 v[30:31], v[96:97], v[30:31]
	s_waitcnt vmcnt(2)
	v_add_f64 v[38:39], v[26:27], v[227:228]
	s_waitcnt vmcnt(0)
	v_add_lshl_u32 v0, v1, v0, 4
	v_add_f64 v[30:31], v[38:39], v[30:31]
	ds_write_b128 v0, v[32:35]
	ds_write_b128 v0, v[28:31] offset:48
	ds_write_b128 v0, v[18:21] offset:96
	;; [unrolled: 1-line block ×6, first 2 shown]
	buffer_load_dword v6, off, s[56:59], 0 offset:380 ; 4-byte Folded Reload
	buffer_load_dword v7, off, s[56:59], 0 offset:384 ; 4-byte Folded Reload
	;; [unrolled: 1-line block ×4, first 2 shown]
	s_waitcnt vmcnt(0)
	ds_write_b128 v0, v[6:9] offset:336
	ds_write_b128 v0, v[2:5] offset:384
	;; [unrolled: 1-line block ×5, first 2 shown]
	buffer_load_dword v1, off, s[56:59], 0 offset:8 ; 4-byte Folded Reload
	buffer_load_dword v2, off, s[56:59], 0 offset:12 ; 4-byte Folded Reload
	buffer_load_dword v3, off, s[56:59], 0 offset:16 ; 4-byte Folded Reload
	buffer_load_dword v4, off, s[56:59], 0 offset:20 ; 4-byte Folded Reload
	s_waitcnt vmcnt(0)
	ds_write_b128 v0, v[1:4] offset:576
.LBB0_11:
	s_or_b64 exec, exec, s[36:37]
	s_waitcnt vmcnt(0) lgkmcnt(0)
	s_barrier
	ds_read_b128 v[136:139], v255
	ds_read_b128 v[132:135], v255 offset:1872
	ds_read_b128 v[144:147], v255 offset:13728
	;; [unrolled: 1-line block ×8, first 2 shown]
	s_and_saveexec_b64 s[14:15], s[0:1]
	s_cbranch_execz .LBB0_13
; %bb.12:
	ds_read_b128 v[116:119], v255 offset:5616
	ds_read_b128 v[120:123], v255 offset:12480
	;; [unrolled: 1-line block ×3, first 2 shown]
.LBB0_13:
	s_or_b64 exec, exec, s[14:15]
	buffer_load_dword v2, off, s[56:59], 0  ; 4-byte Folded Reload
	s_movk_i32 s14, 0xa5
	v_mov_b32_e32 v4, s5
	s_mov_b32 s19, 0xbfebb67a
	s_movk_i32 s16, 0x75
	s_waitcnt vmcnt(0)
	v_mul_lo_u16_sdwa v0, v2, s14 dst_sel:DWORD dst_unused:UNUSED_PAD src0_sel:BYTE_0 src1_sel:DWORD
	v_sub_u16_sdwa v1, v2, v0 dst_sel:DWORD dst_unused:UNUSED_PAD src0_sel:DWORD src1_sel:BYTE_1
	v_lshrrev_b16_e32 v1, 1, v1
	v_and_b32_e32 v1, 0x7f, v1
	v_add_u16_sdwa v0, v1, v0 dst_sel:DWORD dst_unused:UNUSED_PAD src0_sel:DWORD src1_sel:BYTE_1
	v_lshrrev_b16_e32 v0, 5, v0
	v_and_b32_e32 v156, 7, v0
	v_mul_lo_u16_e32 v0, 39, v156
	v_sub_u16_e32 v0, v2, v0
	v_and_b32_e32 v157, 0xff, v0
	v_lshlrev_b32_e32 v0, 5, v157
	v_mul_lo_u16_sdwa v2, v169, s14 dst_sel:DWORD dst_unused:UNUSED_PAD src0_sel:BYTE_0 src1_sel:DWORD
	global_load_dwordx4 v[52:55], v0, s[4:5] offset:592
	global_load_dwordx4 v[56:59], v0, s[4:5] offset:576
	v_sub_u16_sdwa v0, v169, v2 dst_sel:DWORD dst_unused:UNUSED_PAD src0_sel:DWORD src1_sel:BYTE_1
	v_lshrrev_b16_e32 v0, 1, v0
	s_mov_b32 s14, 0xa41b
	v_and_b32_e32 v3, 0x7f, v0
	v_mul_u32_u24_sdwa v0, v168, s14 dst_sel:DWORD dst_unused:UNUSED_PAD src0_sel:WORD_0 src1_sel:DWORD
	v_sub_u16_sdwa v1, v168, v0 dst_sel:DWORD dst_unused:UNUSED_PAD src0_sel:DWORD src1_sel:WORD_1
	v_lshrrev_b16_e32 v1, 1, v1
	v_add_u16_sdwa v0, v1, v0 dst_sel:DWORD dst_unused:UNUSED_PAD src0_sel:DWORD src1_sel:WORD_1
	v_lshrrev_b16_e32 v158, 5, v0
	v_mul_lo_u16_e32 v0, 39, v158
	v_sub_u16_e32 v159, v168, v0
	v_lshlrev_b16_e32 v0, 5, v159
	v_add_co_u32_e32 v0, vcc, s4, v0
	v_addc_co_u32_e32 v1, vcc, 0, v4, vcc
	global_load_dwordx4 v[96:99], v[0:1], off offset:592
	global_load_dwordx4 v[104:107], v[0:1], off offset:576
	v_mul_u32_u24_sdwa v0, v214, s14 dst_sel:DWORD dst_unused:UNUSED_PAD src0_sel:WORD_0 src1_sel:DWORD
	v_sub_u16_sdwa v1, v214, v0 dst_sel:DWORD dst_unused:UNUSED_PAD src0_sel:DWORD src1_sel:WORD_1
	v_lshrrev_b16_e32 v1, 1, v1
	v_add_u16_sdwa v0, v1, v0 dst_sel:DWORD dst_unused:UNUSED_PAD src0_sel:DWORD src1_sel:WORD_1
	v_lshrrev_b16_e32 v0, 5, v0
	buffer_store_dword v0, off, s[56:59], 0 offset:188 ; 4-byte Folded Spill
	v_mul_lo_u16_e32 v0, 39, v0
	v_sub_u16_e32 v0, v214, v0
	buffer_store_dword v0, off, s[56:59], 0 offset:196 ; 4-byte Folded Spill
	v_lshlrev_b16_e32 v0, 5, v0
	v_add_co_u32_e32 v0, vcc, s4, v0
	v_addc_co_u32_e32 v1, vcc, 0, v4, vcc
	global_load_dwordx4 v[32:35], v[0:1], off offset:592
	global_load_dwordx4 v[44:47], v[0:1], off offset:576
	v_add_u16_sdwa v0, v3, v2 dst_sel:DWORD dst_unused:UNUSED_PAD src0_sel:DWORD src1_sel:BYTE_1
	v_lshrrev_b16_e32 v0, 5, v0
	v_and_b32_e32 v168, 7, v0
	v_mul_lo_u16_e32 v0, 39, v168
	v_sub_u16_e32 v0, v169, v0
	v_and_b32_e32 v169, 0xff, v0
	v_lshlrev_b32_e32 v0, 5, v169
	global_load_dwordx4 v[112:115], v0, s[4:5] offset:576
	global_load_dwordx4 v[108:111], v0, s[4:5] offset:592
	s_mov_b32 s14, 0xe8584caa
	s_mov_b32 s15, 0x3febb67a
	;; [unrolled: 1-line block ×3, first 2 shown]
	s_waitcnt vmcnt(9) lgkmcnt(6)
	v_mul_f64 v[20:21], v[146:147], v[54:55]
	s_waitcnt vmcnt(8) lgkmcnt(4)
	v_mul_f64 v[16:17], v[154:155], v[58:59]
	v_mul_f64 v[18:19], v[152:153], v[58:59]
	;; [unrolled: 1-line block ×3, first 2 shown]
	s_waitcnt vmcnt(7) lgkmcnt(0)
	v_mul_f64 v[4:5], v[162:163], v[98:99]
	s_waitcnt vmcnt(6)
	v_mul_f64 v[0:1], v[166:167], v[106:107]
	v_mul_f64 v[2:3], v[164:165], v[106:107]
	;; [unrolled: 1-line block ×3, first 2 shown]
	v_fma_f64 v[40:41], v[160:161], v[96:97], -v[4:5]
	v_fma_f64 v[36:37], v[164:165], v[104:105], -v[0:1]
	v_fma_f64 v[38:39], v[166:167], v[104:105], v[2:3]
	v_fma_f64 v[42:43], v[162:163], v[96:97], v[6:7]
	s_waitcnt vmcnt(3)
	v_mul_f64 v[12:13], v[126:127], v[34:35]
	s_waitcnt vmcnt(2)
	v_mul_f64 v[8:9], v[122:123], v[46:47]
	v_mul_f64 v[10:11], v[120:121], v[46:47]
	;; [unrolled: 1-line block ×3, first 2 shown]
	v_fma_f64 v[0:1], v[124:125], v[32:33], -v[12:13]
	v_fma_f64 v[2:3], v[120:121], v[44:45], -v[8:9]
	buffer_store_dword v44, off, s[56:59], 0 offset:276 ; 4-byte Folded Spill
	s_nop 0
	buffer_store_dword v45, off, s[56:59], 0 offset:280 ; 4-byte Folded Spill
	buffer_store_dword v46, off, s[56:59], 0 offset:284 ; 4-byte Folded Spill
	;; [unrolled: 1-line block ×4, first 2 shown]
	s_nop 0
	buffer_store_dword v33, off, s[56:59], 0 offset:264 ; 4-byte Folded Spill
	buffer_store_dword v34, off, s[56:59], 0 offset:268 ; 4-byte Folded Spill
	;; [unrolled: 1-line block ×3, first 2 shown]
	s_waitcnt vmcnt(9)
	v_mul_f64 v[24:25], v[150:151], v[114:115]
	v_mul_f64 v[26:27], v[148:149], v[114:115]
	s_waitcnt vmcnt(8)
	v_mul_f64 v[28:29], v[142:143], v[110:111]
	v_mul_f64 v[30:31], v[140:141], v[110:111]
	v_fma_f64 v[8:9], v[152:153], v[56:57], -v[16:17]
	v_fma_f64 v[12:13], v[144:145], v[52:53], -v[20:21]
	v_add_f64 v[46:47], v[36:37], v[40:41]
	v_add_f64 v[124:125], v[38:39], v[42:43]
	v_fma_f64 v[16:17], v[148:149], v[112:113], -v[24:25]
	v_fma_f64 v[20:21], v[140:141], v[108:109], -v[28:29]
	s_waitcnt vmcnt(0)
	s_barrier
	v_add_f64 v[24:25], v[136:137], v[8:9]
	v_fma_f64 v[46:47], v[46:47], -0.5, v[128:129]
	v_add_f64 v[34:35], v[16:17], v[20:21]
	v_fma_f64 v[6:7], v[122:123], v[44:45], v[10:11]
	v_fma_f64 v[4:5], v[126:127], v[32:33], v[14:15]
	;; [unrolled: 1-line block ×6, first 2 shown]
	v_add_f64 v[26:27], v[8:9], v[12:13]
	v_add_f64 v[8:9], v[8:9], -v[12:13]
	v_add_f64 v[126:127], v[2:3], v[0:1]
	v_add_f64 v[32:33], v[132:133], v[16:17]
	;; [unrolled: 1-line block ×3, first 2 shown]
	v_add_f64 v[28:29], v[10:11], -v[14:15]
	v_add_f64 v[10:11], v[10:11], v[14:15]
	v_add_f64 v[140:141], v[18:19], v[22:23]
	v_fma_f64 v[26:27], v[26:27], -0.5, v[136:137]
	v_add_f64 v[120:121], v[18:19], -v[22:23]
	v_add_f64 v[122:123], v[134:135], v[18:19]
	v_add_f64 v[142:143], v[16:17], -v[20:21]
	v_add_f64 v[16:17], v[24:25], v[12:13]
	v_add_f64 v[18:19], v[30:31], v[14:15]
	v_fma_f64 v[10:11], v[10:11], -0.5, v[138:139]
	v_fma_f64 v[12:13], v[34:35], -0.5, v[132:133]
	v_fma_f64 v[14:15], v[140:141], -0.5, v[134:135]
	v_fma_f64 v[24:25], v[28:29], s[14:15], v[26:27]
	v_fma_f64 v[28:29], v[28:29], s[18:19], v[26:27]
	v_add_f64 v[44:45], v[128:129], v[36:37]
	v_add_f64 v[20:21], v[32:33], v[20:21]
	;; [unrolled: 1-line block ×3, first 2 shown]
	v_fma_f64 v[26:27], v[8:9], s[18:19], v[10:11]
	v_fma_f64 v[30:31], v[8:9], s[14:15], v[10:11]
	v_add_f64 v[10:11], v[6:7], v[4:5]
	v_fma_f64 v[32:33], v[120:121], s[14:15], v[12:13]
	v_fma_f64 v[120:121], v[120:121], s[18:19], v[12:13]
	v_fma_f64 v[34:35], v[142:143], s[18:19], v[14:15]
	v_fma_f64 v[122:123], v[142:143], s[14:15], v[14:15]
	v_add_f64 v[132:133], v[38:39], -v[42:43]
	v_add_f64 v[38:39], v[130:131], v[38:39]
	v_fma_f64 v[134:135], v[124:125], -0.5, v[130:131]
	v_add_f64 v[36:37], v[36:37], -v[40:41]
	v_fma_f64 v[8:9], v[126:127], -0.5, v[116:117]
	v_add_f64 v[12:13], v[6:7], -v[4:5]
	;; [unrolled: 2-line block ×3, first 2 shown]
	v_add_f64 v[124:125], v[44:45], v[40:41]
	v_fma_f64 v[128:129], v[132:133], s[14:15], v[46:47]
	v_fma_f64 v[132:133], v[132:133], s[18:19], v[46:47]
	v_add_f64 v[126:127], v[38:39], v[42:43]
	v_fma_f64 v[130:131], v[36:37], s[18:19], v[134:135]
	v_fma_f64 v[134:135], v[36:37], s[14:15], v[134:135]
	;; [unrolled: 1-line block ×4, first 2 shown]
	v_mul_u32_u24_sdwa v36, v156, s16 dst_sel:DWORD dst_unused:UNUSED_PAD src0_sel:WORD_0 src1_sel:DWORD
	v_add_lshl_u32 v36, v36, v157, 4
	ds_write_b128 v36, v[16:19]
	ds_write_b128 v36, v[24:27] offset:624
	v_mul_u32_u24_sdwa v16, v168, s16 dst_sel:DWORD dst_unused:UNUSED_PAD src0_sel:WORD_0 src1_sel:DWORD
	v_add_lshl_u32 v216, v16, v169, 4
	v_mad_legacy_u16 v16, v158, s16, v159
	v_lshlrev_b32_e32 v16, 4, v16
	buffer_store_dword v36, off, s[56:59], 0 offset:244 ; 4-byte Folded Spill
	ds_write_b128 v36, v[28:31] offset:1248
	ds_write_b128 v216, v[20:23]
	ds_write_b128 v216, v[32:35] offset:624
	ds_write_b128 v216, v[120:123] offset:1248
	ds_write_b128 v16, v[124:127]
	ds_write_b128 v16, v[128:131] offset:624
	buffer_store_dword v16, off, s[56:59], 0 offset:252 ; 4-byte Folded Spill
	ds_write_b128 v16, v[132:135] offset:1248
	s_and_saveexec_b64 s[18:19], s[0:1]
	s_cbranch_execz .LBB0_15
; %bb.14:
	v_add_f64 v[6:7], v[118:119], v[6:7]
	v_add_f64 v[16:17], v[116:117], v[2:3]
	v_mul_f64 v[12:13], v[12:13], s[14:15]
	v_mul_f64 v[14:15], v[14:15], s[14:15]
	v_add_f64 v[6:7], v[6:7], v[4:5]
	v_add_f64 v[4:5], v[16:17], v[0:1]
	;; [unrolled: 1-line block ×3, first 2 shown]
	buffer_load_dword v8, off, s[56:59], 0 offset:188 ; 4-byte Folded Reload
	buffer_load_dword v9, off, s[56:59], 0 offset:196 ; 4-byte Folded Reload
	v_add_f64 v[2:3], v[10:11], -v[14:15]
	s_waitcnt vmcnt(0)
	v_mad_legacy_u16 v8, v8, s16, v9
	v_lshlrev_b32_e32 v8, 4, v8
	ds_write_b128 v8, v[4:7]
	ds_write_b128 v8, v[0:3] offset:624
	ds_write_b128 v8, v[160:163] offset:1248
.LBB0_15:
	s_or_b64 exec, exec, s[18:19]
	v_mov_b32_e32 v0, s17
	v_addc_co_u32_e64 v32, vcc, 0, v0, s[6:7]
	s_waitcnt vmcnt(0) lgkmcnt(0)
	s_barrier
	ds_read_b128 v[168:171], v255
	ds_read_b128 v[0:3], v255 offset:1872
	ds_read_b128 v[4:7], v255 offset:3744
	ds_read_b128 v[8:11], v255 offset:5616
	ds_read_b128 v[12:15], v255 offset:7488
	ds_read_b128 v[16:19], v255 offset:9360
	ds_read_b128 v[20:23], v255 offset:11232
	ds_read_b128 v[24:27], v255 offset:13104
	ds_read_b128 v[28:31], v255 offset:14976
	ds_read_b128 v[33:36], v255 offset:16848
	ds_read_b128 v[164:167], v255 offset:18720
	buffer_load_dword v39, off, s[56:59], 0 ; 4-byte Folded Reload
	v_mov_b32_e32 v38, s5
	s_movk_i32 s6, 0xa0
	v_mov_b32_e32 v37, s4
	s_mov_b32 s26, 0xf8bb580b
	s_mov_b32 s27, 0xbfe14ced
	;; [unrolled: 1-line block ×23, first 2 shown]
	s_waitcnt vmcnt(0)
	v_mad_u64_u32 v[37:38], s[4:5], v39, s6, v[37:38]
	global_load_dwordx4 v[120:123], v[37:38], off offset:1872
	global_load_dwordx4 v[124:127], v[37:38], off offset:1856
	global_load_dwordx4 v[132:135], v[37:38], off offset:1840
	global_load_dwordx4 v[140:143], v[37:38], off offset:1824
	global_load_dwordx4 v[116:119], v[37:38], off offset:1936
	global_load_dwordx4 v[128:131], v[37:38], off offset:1920
	global_load_dwordx4 v[136:139], v[37:38], off offset:1904
	global_load_dwordx4 v[148:151], v[37:38], off offset:1888
	global_load_dwordx4 v[144:147], v[37:38], off offset:1968
	global_load_dwordx4 v[152:155], v[37:38], off offset:1952
	s_mov_b32 s6, 0x8eee2c13
	s_mov_b32 s4, 0x640f44db
	;; [unrolled: 1-line block ×3, first 2 shown]
	s_waitcnt vmcnt(6) lgkmcnt(9)
	v_mul_f64 v[39:40], v[2:3], v[142:143]
	v_fma_f64 v[39:40], v[0:1], v[140:141], -v[39:40]
	v_mul_f64 v[0:1], v[0:1], v[142:143]
	v_fma_f64 v[41:42], v[2:3], v[140:141], v[0:1]
	s_waitcnt lgkmcnt(8)
	v_mul_f64 v[0:1], v[6:7], v[134:135]
	v_mul_f64 v[2:3], v[4:5], v[134:135]
	v_fma_f64 v[0:1], v[4:5], v[132:133], -v[0:1]
	s_waitcnt lgkmcnt(7)
	v_mul_f64 v[4:5], v[10:11], v[126:127]
	v_fma_f64 v[2:3], v[6:7], v[132:133], v[2:3]
	s_waitcnt vmcnt(1) lgkmcnt(0)
	v_mul_f64 v[6:7], v[164:165], v[146:147]
	v_fma_f64 v[190:191], v[8:9], v[124:125], -v[4:5]
	v_mul_f64 v[4:5], v[8:9], v[126:127]
	v_add_f64 v[8:9], v[168:169], v[39:40]
	v_fma_f64 v[6:7], v[166:167], v[144:145], v[6:7]
	v_fma_f64 v[188:189], v[10:11], v[124:125], v[4:5]
	v_mul_f64 v[4:5], v[14:15], v[122:123]
	v_add_f64 v[10:11], v[170:171], v[41:42]
	v_add_f64 v[8:9], v[8:9], v[0:1]
	v_fma_f64 v[182:183], v[12:13], v[120:121], -v[4:5]
	v_mul_f64 v[4:5], v[12:13], v[122:123]
	v_add_f64 v[10:11], v[10:11], v[2:3]
	v_add_f64 v[8:9], v[8:9], v[190:191]
	v_fma_f64 v[180:181], v[14:15], v[120:121], v[4:5]
	v_mul_f64 v[4:5], v[18:19], v[150:151]
	v_add_f64 v[10:11], v[10:11], v[188:189]
	v_add_f64 v[8:9], v[8:9], v[182:183]
	v_fma_f64 v[176:177], v[16:17], v[148:149], -v[4:5]
	v_mul_f64 v[4:5], v[16:17], v[150:151]
	v_add_f64 v[10:11], v[10:11], v[180:181]
	v_add_f64 v[8:9], v[8:9], v[176:177]
	v_fma_f64 v[172:173], v[18:19], v[148:149], v[4:5]
	v_mul_f64 v[4:5], v[22:23], v[138:139]
	v_add_f64 v[10:11], v[10:11], v[172:173]
	v_fma_f64 v[178:179], v[20:21], v[136:137], -v[4:5]
	v_mul_f64 v[4:5], v[20:21], v[138:139]
	v_add_f64 v[8:9], v[8:9], v[178:179]
	v_fma_f64 v[174:175], v[22:23], v[136:137], v[4:5]
	v_mul_f64 v[4:5], v[26:27], v[130:131]
	v_add_f64 v[10:11], v[10:11], v[174:175]
	v_fma_f64 v[186:187], v[24:25], v[128:129], -v[4:5]
	v_mul_f64 v[4:5], v[24:25], v[130:131]
	v_add_f64 v[24:25], v[41:42], -v[6:7]
	v_add_f64 v[8:9], v[8:9], v[186:187]
	v_fma_f64 v[184:185], v[26:27], v[128:129], v[4:5]
	v_mul_f64 v[4:5], v[30:31], v[118:119]
	v_add_f64 v[10:11], v[10:11], v[184:185]
	v_fma_f64 v[194:195], v[28:29], v[116:117], -v[4:5]
	v_mul_f64 v[4:5], v[28:29], v[118:119]
	v_add_f64 v[8:9], v[8:9], v[194:195]
	v_fma_f64 v[192:193], v[30:31], v[116:117], v[4:5]
	s_waitcnt vmcnt(0)
	v_mul_f64 v[4:5], v[35:36], v[154:155]
	v_add_f64 v[30:31], v[41:42], v[6:7]
	v_mul_f64 v[41:42], v[24:25], s[28:29]
	v_add_f64 v[10:11], v[10:11], v[192:193]
	v_fma_f64 v[200:201], v[33:34], v[152:153], -v[4:5]
	v_mul_f64 v[4:5], v[33:34], v[154:155]
	v_add_f64 v[8:9], v[8:9], v[200:201]
	v_fma_f64 v[202:203], v[35:36], v[152:153], v[4:5]
	v_mul_f64 v[4:5], v[166:167], v[146:147]
	v_add_f64 v[10:11], v[10:11], v[202:203]
	v_fma_f64 v[4:5], v[164:165], v[144:145], -v[4:5]
	v_add_f64 v[166:167], v[10:11], v[6:7]
	v_add_f64 v[164:165], v[8:9], v[4:5]
	v_add_f64 v[28:29], v[39:40], v[4:5]
	v_add_f64 v[26:27], v[39:40], -v[4:5]
	v_mul_f64 v[4:5], v[24:25], s[26:27]
	v_mul_f64 v[43:44], v[26:27], s[28:29]
	v_fma_f64 v[6:7], v[28:29], s[18:19], -v[4:5]
	v_fma_f64 v[4:5], v[28:29], s[18:19], v[4:5]
	v_add_f64 v[33:34], v[168:169], v[6:7]
	v_mul_f64 v[6:7], v[26:27], s[26:27]
	v_add_f64 v[37:38], v[168:169], v[4:5]
	v_fma_f64 v[4:5], v[30:31], s[18:19], -v[6:7]
	v_fma_f64 v[8:9], v[30:31], s[18:19], v[6:7]
	v_add_f64 v[39:40], v[170:171], v[4:5]
	v_mul_f64 v[4:5], v[24:25], s[6:7]
	v_add_f64 v[35:36], v[170:171], v[8:9]
	;; [unrolled: 5-line block ×6, first 2 shown]
	v_fma_f64 v[24:25], v[28:29], s[24:25], -v[41:42]
	v_fma_f64 v[6:7], v[28:29], s[20:21], -v[4:5]
	v_fma_f64 v[4:5], v[28:29], s[20:21], v[4:5]
	v_fma_f64 v[28:29], v[28:29], s[24:25], v[41:42]
	v_add_f64 v[41:42], v[0:1], v[200:201]
	v_add_f64 v[0:1], v[0:1], -v[200:201]
	v_add_f64 v[24:25], v[168:169], v[24:25]
	v_add_f64 v[16:17], v[168:169], v[6:7]
	v_mul_f64 v[6:7], v[26:27], s[22:23]
	v_fma_f64 v[26:27], v[30:31], s[24:25], v[43:44]
	v_add_f64 v[4:5], v[168:169], v[4:5]
	v_add_f64 v[28:29], v[168:169], v[28:29]
	v_fma_f64 v[8:9], v[30:31], s[20:21], v[6:7]
	v_fma_f64 v[6:7], v[30:31], s[20:21], -v[6:7]
	v_fma_f64 v[30:31], v[30:31], s[24:25], -v[43:44]
	v_add_f64 v[43:44], v[2:3], v[202:203]
	v_add_f64 v[2:3], v[2:3], -v[202:203]
	v_add_f64 v[26:27], v[170:171], v[26:27]
	v_add_f64 v[8:9], v[170:171], v[8:9]
	;; [unrolled: 1-line block ×4, first 2 shown]
	v_mul_f64 v[45:46], v[2:3], s[6:7]
	v_fma_f64 v[156:157], v[41:42], s[14:15], -v[45:46]
	v_fma_f64 v[45:46], v[41:42], s[14:15], v[45:46]
	v_add_f64 v[33:34], v[156:157], v[33:34]
	v_mul_f64 v[156:157], v[0:1], s[6:7]
	v_add_f64 v[37:38], v[45:46], v[37:38]
	s_mov_b32 s7, 0x3fed1bb4
	v_fma_f64 v[45:46], v[43:44], s[14:15], -v[156:157]
	v_fma_f64 v[158:159], v[43:44], s[14:15], v[156:157]
	v_add_f64 v[39:40], v[45:46], v[39:40]
	v_mul_f64 v[45:46], v[2:3], s[22:23]
	v_add_f64 v[35:36], v[158:159], v[35:36]
	v_mul_f64 v[158:159], v[0:1], s[22:23]
	v_fma_f64 v[156:157], v[41:42], s[20:21], -v[45:46]
	v_fma_f64 v[45:46], v[41:42], s[20:21], v[45:46]
	v_fma_f64 v[168:169], v[43:44], s[20:21], v[158:159]
	v_add_f64 v[156:157], v[156:157], v[198:199]
	v_add_f64 v[12:13], v[45:46], v[12:13]
	v_fma_f64 v[45:46], v[43:44], s[20:21], -v[158:159]
	v_add_f64 v[10:11], v[168:169], v[10:11]
	v_mul_f64 v[168:169], v[0:1], s[36:37]
	v_add_f64 v[14:15], v[45:46], v[14:15]
	v_mul_f64 v[45:46], v[2:3], s[36:37]
	v_fma_f64 v[170:171], v[43:44], s[24:25], v[168:169]
	v_fma_f64 v[158:159], v[41:42], s[24:25], -v[45:46]
	v_fma_f64 v[45:46], v[41:42], s[24:25], v[45:46]
	v_add_f64 v[18:19], v[170:171], v[18:19]
	v_add_f64 v[158:159], v[158:159], v[196:197]
	;; [unrolled: 1-line block ×3, first 2 shown]
	v_fma_f64 v[45:46], v[43:44], s[24:25], -v[168:169]
	v_add_f64 v[22:23], v[45:46], v[22:23]
	v_mul_f64 v[45:46], v[2:3], s[34:35]
	v_mul_f64 v[2:3], v[2:3], s[30:31]
	v_fma_f64 v[168:169], v[41:42], s[4:5], -v[45:46]
	v_fma_f64 v[45:46], v[41:42], s[4:5], v[45:46]
	v_add_f64 v[16:17], v[168:169], v[16:17]
	v_mul_f64 v[168:169], v[0:1], s[34:35]
	v_add_f64 v[4:5], v[45:46], v[4:5]
	v_mul_f64 v[0:1], v[0:1], s[30:31]
	v_fma_f64 v[45:46], v[43:44], s[4:5], -v[168:169]
	v_fma_f64 v[170:171], v[43:44], s[4:5], v[168:169]
	v_add_f64 v[6:7], v[45:46], v[6:7]
	v_fma_f64 v[45:46], v[41:42], s[18:19], -v[2:3]
	v_fma_f64 v[2:3], v[41:42], s[18:19], v[2:3]
	v_add_f64 v[41:42], v[190:191], -v[194:195]
	v_add_f64 v[8:9], v[170:171], v[8:9]
	v_add_f64 v[24:25], v[45:46], v[24:25]
	v_fma_f64 v[45:46], v[43:44], s[18:19], v[0:1]
	v_fma_f64 v[0:1], v[43:44], s[18:19], -v[0:1]
	v_add_f64 v[43:44], v[188:189], -v[192:193]
	v_add_f64 v[2:3], v[2:3], v[28:29]
	v_add_f64 v[28:29], v[190:191], v[194:195]
	;; [unrolled: 1-line block ×4, first 2 shown]
	v_mul_f64 v[45:46], v[43:44], s[16:17]
	v_add_f64 v[30:31], v[188:189], v[192:193]
	v_fma_f64 v[168:169], v[28:29], s[4:5], -v[45:46]
	v_fma_f64 v[45:46], v[28:29], s[4:5], v[45:46]
	v_add_f64 v[33:34], v[168:169], v[33:34]
	v_mul_f64 v[168:169], v[41:42], s[16:17]
	v_add_f64 v[37:38], v[45:46], v[37:38]
	v_fma_f64 v[45:46], v[30:31], s[4:5], -v[168:169]
	v_fma_f64 v[170:171], v[30:31], s[4:5], v[168:169]
	v_add_f64 v[39:40], v[45:46], v[39:40]
	;; [unrolled: 5-line block ×6, first 2 shown]
	v_mul_f64 v[45:46], v[43:44], s[26:27]
	v_mul_f64 v[43:44], v[43:44], s[22:23]
	v_add_f64 v[18:19], v[170:171], v[18:19]
	v_fma_f64 v[168:169], v[28:29], s[18:19], -v[45:46]
	v_fma_f64 v[45:46], v[28:29], s[18:19], v[45:46]
	v_add_f64 v[16:17], v[168:169], v[16:17]
	v_mul_f64 v[168:169], v[41:42], s[26:27]
	v_add_f64 v[4:5], v[45:46], v[4:5]
	v_mul_f64 v[41:42], v[41:42], s[22:23]
	v_fma_f64 v[45:46], v[30:31], s[18:19], -v[168:169]
	v_fma_f64 v[170:171], v[30:31], s[18:19], v[168:169]
	v_add_f64 v[6:7], v[45:46], v[6:7]
	v_fma_f64 v[45:46], v[28:29], s[20:21], -v[43:44]
	v_fma_f64 v[28:29], v[28:29], s[20:21], v[43:44]
	v_add_f64 v[43:44], v[180:181], -v[184:185]
	v_add_f64 v[8:9], v[170:171], v[8:9]
	v_add_f64 v[24:25], v[45:46], v[24:25]
	v_fma_f64 v[45:46], v[30:31], s[20:21], v[41:42]
	v_add_f64 v[2:3], v[28:29], v[2:3]
	v_fma_f64 v[28:29], v[30:31], s[20:21], -v[41:42]
	v_add_f64 v[41:42], v[182:183], -v[186:187]
	v_add_f64 v[30:31], v[180:181], v[184:185]
	v_add_f64 v[26:27], v[45:46], v[26:27]
	v_mul_f64 v[45:46], v[43:44], s[22:23]
	v_add_f64 v[0:1], v[28:29], v[0:1]
	v_add_f64 v[28:29], v[182:183], v[186:187]
	v_fma_f64 v[168:169], v[28:29], s[20:21], -v[45:46]
	v_fma_f64 v[45:46], v[28:29], s[20:21], v[45:46]
	v_add_f64 v[33:34], v[168:169], v[33:34]
	v_mul_f64 v[168:169], v[41:42], s[22:23]
	v_add_f64 v[37:38], v[45:46], v[37:38]
	v_fma_f64 v[45:46], v[30:31], s[20:21], -v[168:169]
	v_fma_f64 v[170:171], v[30:31], s[20:21], v[168:169]
	v_add_f64 v[39:40], v[45:46], v[39:40]
	v_mul_f64 v[45:46], v[43:44], s[34:35]
	v_add_f64 v[35:36], v[170:171], v[35:36]
	v_fma_f64 v[168:169], v[28:29], s[4:5], -v[45:46]
	v_fma_f64 v[45:46], v[28:29], s[4:5], v[45:46]
	v_add_f64 v[156:157], v[168:169], v[156:157]
	v_mul_f64 v[168:169], v[41:42], s[34:35]
	v_add_f64 v[12:13], v[45:46], v[12:13]
	v_fma_f64 v[45:46], v[30:31], s[4:5], -v[168:169]
	v_fma_f64 v[170:171], v[30:31], s[4:5], v[168:169]
	v_add_f64 v[14:15], v[45:46], v[14:15]
	v_mul_f64 v[45:46], v[43:44], s[26:27]
	v_add_f64 v[10:11], v[170:171], v[10:11]
	v_fma_f64 v[168:169], v[28:29], s[18:19], -v[45:46]
	v_fma_f64 v[45:46], v[28:29], s[18:19], v[45:46]
	v_add_f64 v[158:159], v[168:169], v[158:159]
	v_mul_f64 v[168:169], v[41:42], s[26:27]
	v_add_f64 v[20:21], v[45:46], v[20:21]
	v_fma_f64 v[45:46], v[30:31], s[18:19], -v[168:169]
	v_fma_f64 v[170:171], v[30:31], s[18:19], v[168:169]
	v_add_f64 v[22:23], v[45:46], v[22:23]
	v_mul_f64 v[45:46], v[43:44], s[28:29]
	v_add_f64 v[18:19], v[170:171], v[18:19]
	v_fma_f64 v[168:169], v[28:29], s[24:25], -v[45:46]
	v_add_f64 v[16:17], v[168:169], v[16:17]
	v_mul_f64 v[168:169], v[41:42], s[28:29]
	v_fma_f64 v[170:171], v[30:31], s[24:25], v[168:169]
	v_add_f64 v[180:181], v[170:171], v[8:9]
	v_fma_f64 v[8:9], v[28:29], s[24:25], v[45:46]
	v_add_f64 v[45:46], v[8:9], v[4:5]
	v_fma_f64 v[4:5], v[30:31], s[24:25], -v[168:169]
	v_add_f64 v[182:183], v[4:5], v[6:7]
	v_mul_f64 v[4:5], v[43:44], s[6:7]
	v_add_f64 v[43:44], v[172:173], v[174:175]
	v_fma_f64 v[6:7], v[28:29], s[14:15], -v[4:5]
	v_fma_f64 v[4:5], v[28:29], s[14:15], v[4:5]
	v_add_f64 v[24:25], v[6:7], v[24:25]
	v_mul_f64 v[6:7], v[41:42], s[6:7]
	v_add_f64 v[41:42], v[176:177], v[178:179]
	v_add_f64 v[176:177], v[176:177], -v[178:179]
	v_add_f64 v[178:179], v[172:173], -v[174:175]
	v_add_f64 v[28:29], v[4:5], v[2:3]
	v_fma_f64 v[2:3], v[30:31], s[14:15], -v[6:7]
	v_fma_f64 v[8:9], v[30:31], s[14:15], v[6:7]
	v_mul_f64 v[6:7], v[176:177], s[28:29]
	v_mul_f64 v[4:5], v[178:179], s[28:29]
	v_add_f64 v[30:31], v[2:3], v[0:1]
	v_add_f64 v[26:27], v[8:9], v[26:27]
	v_mul_f64 v[8:9], v[178:179], s[30:31]
	v_fma_f64 v[0:1], v[41:42], s[24:25], -v[4:5]
	v_fma_f64 v[4:5], v[41:42], s[24:25], v[4:5]
	v_fma_f64 v[2:3], v[43:44], s[24:25], v[6:7]
	v_add_f64 v[0:1], v[0:1], v[33:34]
	v_add_f64 v[168:169], v[4:5], v[37:38]
	v_fma_f64 v[4:5], v[43:44], s[24:25], -v[6:7]
	v_mul_f64 v[33:34], v[176:177], s[30:31]
	v_add_f64 v[2:3], v[2:3], v[35:36]
	v_add_f64 v[170:171], v[4:5], v[39:40]
	v_fma_f64 v[4:5], v[41:42], s[18:19], -v[8:9]
	v_fma_f64 v[8:9], v[41:42], s[18:19], v[8:9]
	v_fma_f64 v[6:7], v[43:44], s[18:19], v[33:34]
	v_add_f64 v[4:5], v[4:5], v[156:157]
	v_add_f64 v[172:173], v[8:9], v[12:13]
	v_fma_f64 v[8:9], v[43:44], s[18:19], -v[33:34]
	v_mul_f64 v[12:13], v[178:179], s[22:23]
	v_mul_f64 v[33:34], v[178:179], s[16:17]
	v_add_f64 v[6:7], v[6:7], v[10:11]
	v_add_f64 v[174:175], v[8:9], v[14:15]
	v_fma_f64 v[8:9], v[41:42], s[20:21], -v[12:13]
	v_mul_f64 v[14:15], v[176:177], s[22:23]
	v_fma_f64 v[12:13], v[41:42], s[20:21], v[12:13]
	v_fma_f64 v[35:36], v[41:42], s[4:5], -v[33:34]
	v_fma_f64 v[33:34], v[41:42], s[4:5], v[33:34]
	v_add_f64 v[8:9], v[8:9], v[158:159]
	v_fma_f64 v[10:11], v[43:44], s[20:21], v[14:15]
	v_add_f64 v[12:13], v[12:13], v[20:21]
	v_fma_f64 v[14:15], v[43:44], s[20:21], -v[14:15]
	v_mul_f64 v[20:21], v[178:179], s[6:7]
	v_add_f64 v[24:25], v[35:36], v[24:25]
	v_mul_f64 v[35:36], v[176:177], s[16:17]
	v_add_f64 v[28:29], v[33:34], v[28:29]
	v_add_f64 v[10:11], v[10:11], v[18:19]
	;; [unrolled: 1-line block ×3, first 2 shown]
	v_fma_f64 v[18:19], v[41:42], s[14:15], -v[20:21]
	v_mul_f64 v[22:23], v[176:177], s[6:7]
	v_fma_f64 v[37:38], v[43:44], s[4:5], v[35:36]
	v_fma_f64 v[33:34], v[43:44], s[4:5], -v[35:36]
	v_fma_f64 v[20:21], v[41:42], s[14:15], v[20:21]
	s_movk_i32 s4, 0x5070
	v_add_f64 v[16:17], v[18:19], v[16:17]
	v_fma_f64 v[18:19], v[43:44], s[14:15], v[22:23]
	v_fma_f64 v[22:23], v[43:44], s[14:15], -v[22:23]
	v_add_f64 v[26:27], v[37:38], v[26:27]
	v_add_f64 v[30:31], v[33:34], v[30:31]
	;; [unrolled: 1-line block ×5, first 2 shown]
	ds_write_b128 v255, v[164:167]
	ds_write_b128 v255, v[0:3] offset:1872
	ds_write_b128 v255, v[4:7] offset:3744
	;; [unrolled: 1-line block ×10, first 2 shown]
	s_waitcnt lgkmcnt(0)
	s_barrier
	buffer_load_dword v18, off, s[56:59], 0 offset:4 ; 4-byte Folded Reload
	ds_read_b128 v[2:5], v255
	s_waitcnt vmcnt(0)
	v_add_co_u32_e32 v0, vcc, s4, v18
	v_addc_co_u32_e32 v1, vcc, 0, v32, vcc
	s_movk_i32 s4, 0x5000
	v_add_co_u32_e32 v6, vcc, s4, v18
	v_addc_co_u32_e32 v7, vcc, 0, v32, vcc
	global_load_dwordx4 v[6:9], v[6:7], off offset:112
	s_movk_i32 s4, 0x6000
	s_waitcnt vmcnt(0) lgkmcnt(0)
	v_mul_f64 v[10:11], v[4:5], v[8:9]
	v_fma_f64 v[10:11], v[2:3], v[6:7], -v[10:11]
	v_mul_f64 v[2:3], v[2:3], v[8:9]
	v_fma_f64 v[12:13], v[4:5], v[6:7], v[2:3]
	v_add_co_u32_e32 v6, vcc, s4, v18
	v_addc_co_u32_e32 v7, vcc, 0, v32, vcc
	global_load_dwordx4 v[6:9], v[6:7], off offset:2880
	ds_read_b128 v[2:5], v255 offset:6864
	s_mov_b32 s4, 0x8000
	ds_write_b128 v255, v[10:13]
	v_add_co_u32_e32 v14, vcc, s4, v18
	v_addc_co_u32_e32 v15, vcc, 0, v32, vcc
	s_movk_i32 s4, 0x7000
	v_add_co_u32_e32 v16, vcc, s4, v18
	v_addc_co_u32_e32 v17, vcc, 0, v32, vcc
	s_mov_b32 s4, 0x9000
	s_waitcnt vmcnt(0) lgkmcnt(1)
	v_mul_f64 v[10:11], v[4:5], v[8:9]
	v_fma_f64 v[10:11], v[2:3], v[6:7], -v[10:11]
	v_mul_f64 v[2:3], v[2:3], v[8:9]
	v_fma_f64 v[12:13], v[4:5], v[6:7], v[2:3]
	global_load_dwordx4 v[6:9], v[14:15], off offset:1552
	ds_read_b128 v[2:5], v255 offset:13728
	ds_write_b128 v255, v[10:13] offset:6864
	s_waitcnt vmcnt(0) lgkmcnt(1)
	v_mul_f64 v[10:11], v[4:5], v[8:9]
	v_fma_f64 v[10:11], v[2:3], v[6:7], -v[10:11]
	v_mul_f64 v[2:3], v[2:3], v[8:9]
	v_fma_f64 v[12:13], v[4:5], v[6:7], v[2:3]
	global_load_dwordx4 v[6:9], v[0:1], off offset:1872
	ds_read_b128 v[2:5], v255 offset:1872
	ds_write_b128 v255, v[10:13] offset:13728
	;; [unrolled: 8-line block ×6, first 2 shown]
	s_waitcnt vmcnt(0) lgkmcnt(1)
	v_mul_f64 v[10:11], v[4:5], v[8:9]
	v_fma_f64 v[10:11], v[2:3], v[6:7], -v[10:11]
	v_mul_f64 v[2:3], v[2:3], v[8:9]
	v_fma_f64 v[12:13], v[4:5], v[6:7], v[2:3]
	v_add_co_u32_e32 v6, vcc, s4, v18
	v_addc_co_u32_e32 v7, vcc, 0, v32, vcc
	global_load_dwordx4 v[6:9], v[6:7], off offset:1200
	ds_read_b128 v[2:5], v255 offset:17472
	ds_write_b128 v255, v[10:13] offset:10608
	s_waitcnt vmcnt(0) lgkmcnt(1)
	v_mul_f64 v[10:11], v[4:5], v[8:9]
	v_fma_f64 v[10:11], v[2:3], v[6:7], -v[10:11]
	v_mul_f64 v[2:3], v[2:3], v[8:9]
	v_fma_f64 v[12:13], v[4:5], v[6:7], v[2:3]
	ds_write_b128 v255, v[10:13] offset:17472
	s_and_saveexec_b64 s[4:5], s[0:1]
	s_cbranch_execz .LBB0_17
; %bb.16:
	v_add_co_u32_e32 v2, vcc, 0x1000, v0
	v_addc_co_u32_e32 v3, vcc, 0, v1, vcc
	s_movk_i32 s6, 0x3000
	v_add_co_u32_e32 v6, vcc, s6, v0
	v_addc_co_u32_e32 v7, vcc, 0, v1, vcc
	s_movk_i32 s6, 0x4000
	v_add_co_u32_e32 v0, vcc, s6, v0
	global_load_dwordx4 v[2:5], v[2:3], off offset:1520
	s_nop 0
	global_load_dwordx4 v[6:9], v[6:7], off offset:192
	v_addc_co_u32_e32 v1, vcc, 0, v1, vcc
	global_load_dwordx4 v[10:13], v[0:1], off offset:2960
	ds_read_b128 v[14:17], v255 offset:5616
	ds_read_b128 v[18:21], v255 offset:12480
	;; [unrolled: 1-line block ×3, first 2 shown]
	s_waitcnt vmcnt(2) lgkmcnt(2)
	v_mul_f64 v[0:1], v[16:17], v[4:5]
	v_mul_f64 v[4:5], v[14:15], v[4:5]
	s_waitcnt vmcnt(1) lgkmcnt(1)
	v_mul_f64 v[26:27], v[20:21], v[8:9]
	v_mul_f64 v[8:9], v[18:19], v[8:9]
	;; [unrolled: 3-line block ×3, first 2 shown]
	v_fma_f64 v[0:1], v[14:15], v[2:3], -v[0:1]
	v_fma_f64 v[2:3], v[16:17], v[2:3], v[4:5]
	v_fma_f64 v[4:5], v[18:19], v[6:7], -v[26:27]
	v_fma_f64 v[6:7], v[20:21], v[6:7], v[8:9]
	;; [unrolled: 2-line block ×3, first 2 shown]
	ds_write_b128 v255, v[0:3] offset:5616
	ds_write_b128 v255, v[4:7] offset:12480
	;; [unrolled: 1-line block ×3, first 2 shown]
.LBB0_17:
	s_or_b64 exec, exec, s[4:5]
	s_waitcnt lgkmcnt(0)
	s_barrier
	ds_read_b128 v[164:167], v255
	ds_read_b128 v[188:191], v255 offset:1872
	ds_read_b128 v[176:179], v255 offset:13728
	;; [unrolled: 1-line block ×8, first 2 shown]
	s_and_saveexec_b64 s[4:5], s[0:1]
	s_cbranch_execz .LBB0_19
; %bb.18:
	ds_read_b128 v[172:175], v255 offset:5616
	ds_read_b128 v[168:171], v255 offset:12480
	ds_read_b128 v[160:163], v255 offset:19344
.LBB0_19:
	s_or_b64 exec, exec, s[4:5]
	s_waitcnt lgkmcnt(4)
	v_add_f64 v[0:1], v[180:181], v[176:177]
	v_add_f64 v[2:3], v[164:165], v[180:181]
	v_add_f64 v[4:5], v[182:183], -v[178:179]
	v_add_f64 v[6:7], v[182:183], v[178:179]
	s_mov_b32 s4, 0xe8584caa
	s_mov_b32 s5, 0xbfebb67a
	;; [unrolled: 1-line block ×4, first 2 shown]
	v_fma_f64 v[0:1], v[0:1], -0.5, v[164:165]
	v_add_f64 v[8:9], v[166:167], v[182:183]
	v_add_f64 v[10:11], v[180:181], -v[176:177]
	s_waitcnt lgkmcnt(2)
	v_add_f64 v[12:13], v[196:197], v[184:185]
	v_add_f64 v[164:165], v[2:3], v[176:177]
	v_fma_f64 v[2:3], v[6:7], -0.5, v[166:167]
	s_waitcnt lgkmcnt(0)
	v_add_f64 v[14:15], v[212:213], -v[208:209]
	v_add_f64 v[16:17], v[168:169], -v[160:161]
	v_fma_f64 v[176:177], v[4:5], s[4:5], v[0:1]
	v_fma_f64 v[180:181], v[4:5], s[6:7], v[0:1]
	v_add_f64 v[0:1], v[198:199], v[186:187]
	v_add_f64 v[166:167], v[8:9], v[178:179]
	v_fma_f64 v[6:7], v[12:13], -0.5, v[188:189]
	v_fma_f64 v[178:179], v[10:11], s[6:7], v[2:3]
	v_add_f64 v[12:13], v[210:211], v[206:207]
	v_fma_f64 v[182:183], v[10:11], s[4:5], v[2:3]
	v_add_f64 v[2:3], v[190:191], v[198:199]
	v_add_f64 v[10:11], v[196:197], -v[184:185]
	v_fma_f64 v[0:1], v[0:1], -0.5, v[190:191]
	v_add_f64 v[4:5], v[188:189], v[196:197]
	v_add_f64 v[8:9], v[198:199], -v[186:187]
	v_fma_f64 v[12:13], v[12:13], -0.5, v[192:193]
	s_barrier
	v_add_f64 v[198:199], v[2:3], v[186:187]
	v_fma_f64 v[186:187], v[10:11], s[6:7], v[0:1]
	v_fma_f64 v[190:191], v[10:11], s[4:5], v[0:1]
	v_add_f64 v[0:1], v[168:169], v[160:161]
	v_add_f64 v[196:197], v[4:5], v[184:185]
	;; [unrolled: 1-line block ×3, first 2 shown]
	v_fma_f64 v[204:205], v[14:15], s[4:5], v[12:13]
	v_fma_f64 v[192:193], v[14:15], s[6:7], v[12:13]
	v_add_f64 v[12:13], v[170:171], -v[162:163]
	v_add_f64 v[10:11], v[172:173], v[168:169]
	v_fma_f64 v[184:185], v[8:9], s[4:5], v[6:7]
	v_fma_f64 v[0:1], v[0:1], -0.5, v[172:173]
	v_fma_f64 v[188:189], v[8:9], s[6:7], v[6:7]
	v_add_f64 v[2:3], v[212:213], v[208:209]
	v_add_f64 v[200:201], v[4:5], v[206:207]
	;; [unrolled: 1-line block ×4, first 2 shown]
	v_add_f64 v[8:9], v[210:211], -v[206:207]
	v_add_f64 v[14:15], v[174:175], v[170:171]
	v_fma_f64 v[168:169], v[12:13], s[4:5], v[0:1]
	v_fma_f64 v[172:173], v[12:13], s[6:7], v[0:1]
	buffer_load_dword v0, off, s[56:59], 0 offset:220 ; 4-byte Folded Reload
	v_fma_f64 v[2:3], v[2:3], -0.5, v[194:195]
	v_fma_f64 v[4:5], v[4:5], -0.5, v[174:175]
	v_add_f64 v[202:203], v[6:7], v[208:209]
	v_add_f64 v[160:161], v[10:11], v[160:161]
	;; [unrolled: 1-line block ×3, first 2 shown]
	s_waitcnt vmcnt(0)
	ds_write_b128 v0, v[164:167]
	ds_write_b128 v0, v[176:179] offset:16
	ds_write_b128 v0, v[180:183] offset:32
	buffer_load_dword v0, off, s[56:59], 0 offset:228 ; 4-byte Folded Reload
	v_fma_f64 v[206:207], v[8:9], s[6:7], v[2:3]
	v_fma_f64 v[194:195], v[8:9], s[4:5], v[2:3]
	;; [unrolled: 1-line block ×4, first 2 shown]
	s_waitcnt vmcnt(0)
	ds_write_b128 v0, v[196:199]
	ds_write_b128 v0, v[184:187] offset:16
	ds_write_b128 v0, v[188:191] offset:32
	buffer_load_dword v0, off, s[56:59], 0 offset:236 ; 4-byte Folded Reload
	s_waitcnt vmcnt(0)
	ds_write_b128 v0, v[200:203]
	ds_write_b128 v0, v[204:207] offset:16
	ds_write_b128 v0, v[192:195] offset:32
	s_and_saveexec_b64 s[4:5], s[0:1]
	s_cbranch_execz .LBB0_21
; %bb.20:
	buffer_load_dword v0, off, s[56:59], 0 offset:292 ; 4-byte Folded Reload
	s_waitcnt vmcnt(0)
	v_lshlrev_b32_e32 v0, 4, v0
	ds_write_b128 v0, v[160:163]
	ds_write_b128 v0, v[168:171] offset:16
	ds_write_b128 v0, v[172:175] offset:32
.LBB0_21:
	s_or_b64 exec, exec, s[4:5]
	s_waitcnt lgkmcnt(0)
	s_barrier
	s_and_saveexec_b64 s[4:5], s[2:3]
	s_cbranch_execz .LBB0_23
; %bb.22:
	ds_read_b128 v[164:167], v255
	ds_read_b128 v[176:179], v255 offset:1584
	ds_read_b128 v[180:183], v255 offset:3168
	;; [unrolled: 1-line block ×12, first 2 shown]
	s_waitcnt lgkmcnt(0)
	buffer_store_dword v0, off, s[56:59], 0 offset:8 ; 4-byte Folded Spill
	s_nop 0
	buffer_store_dword v1, off, s[56:59], 0 offset:12 ; 4-byte Folded Spill
	buffer_store_dword v2, off, s[56:59], 0 offset:16 ; 4-byte Folded Spill
	;; [unrolled: 1-line block ×3, first 2 shown]
.LBB0_23:
	s_or_b64 exec, exec, s[4:5]
	v_mul_f64 v[0:1], v[102:103], v[178:179]
	buffer_load_dword v2, off, s[56:59], 0 offset:204 ; 4-byte Folded Reload
	buffer_load_dword v3, off, s[56:59], 0 offset:208 ; 4-byte Folded Reload
	;; [unrolled: 1-line block ×8, first 2 shown]
	s_mov_b32 s6, 0x42a4c3d2
	s_mov_b32 s7, 0xbfea55e2
	;; [unrolled: 1-line block ×6, first 2 shown]
	v_fma_f64 v[42:43], v[100:101], v[176:177], v[0:1]
	v_mul_f64 v[0:1], v[102:103], v[176:177]
	s_mov_b32 s16, 0x66966769
	s_mov_b32 s18, 0xb2365da1
	;; [unrolled: 1-line block ×7, first 2 shown]
	v_fma_f64 v[102:103], v[100:101], v[178:179], -v[0:1]
	v_mul_f64 v[0:1], v[82:83], v[182:183]
	s_mov_b32 s27, 0xbfcea1e5
	s_mov_b32 s22, 0x93053d00
	;; [unrolled: 1-line block ×7, first 2 shown]
	v_fma_f64 v[100:101], v[80:81], v[180:181], v[0:1]
	v_mul_f64 v[0:1], v[82:83], v[180:181]
	s_mov_b32 s39, 0x3fedeba7
	s_mov_b32 s38, s20
	;; [unrolled: 1-line block ×7, first 2 shown]
	v_fma_f64 v[82:83], v[80:81], v[182:183], -v[0:1]
	v_mul_f64 v[0:1], v[70:71], v[198:199]
	s_mov_b32 s42, s16
	s_mov_b32 s45, 0x3fcea1e5
	;; [unrolled: 1-line block ×6, first 2 shown]
	v_fma_f64 v[80:81], v[68:69], v[196:197], v[0:1]
	v_mul_f64 v[0:1], v[70:71], v[196:197]
	s_waitcnt vmcnt(0)
	s_barrier
	v_fma_f64 v[70:71], v[68:69], v[198:199], -v[0:1]
	v_mul_f64 v[0:1], v[50:51], v[186:187]
	v_fma_f64 v[68:69], v[48:49], v[184:185], v[0:1]
	v_mul_f64 v[0:1], v[50:51], v[184:185]
	v_fma_f64 v[178:179], v[48:49], v[186:187], -v[0:1]
	v_mul_f64 v[0:1], v[90:91], v[190:191]
	v_fma_f64 v[176:177], v[88:89], v[188:189], v[0:1]
	v_mul_f64 v[0:1], v[90:91], v[188:189]
	;; [unrolled: 4-line block ×4, first 2 shown]
	v_add_f64 v[253:254], v[88:89], v[76:77]
	v_fma_f64 v[182:183], v[60:61], v[206:207], -v[0:1]
	v_mul_f64 v[0:1], v[74:75], v[194:195]
	v_fma_f64 v[78:79], v[72:73], v[192:193], v[0:1]
	v_mul_f64 v[0:1], v[74:75], v[192:193]
	v_add_f64 v[231:232], v[176:177], v[78:79]
	v_fma_f64 v[186:187], v[72:73], v[194:195], -v[0:1]
	v_mul_f64 v[0:1], v[94:95], v[162:163]
	v_add_f64 v[241:242], v[176:177], -v[78:79]
	v_add_f64 v[245:246], v[90:91], -v[186:187]
	v_fma_f64 v[184:185], v[92:93], v[160:161], v[0:1]
	v_mul_f64 v[0:1], v[94:95], v[160:161]
	v_add_f64 v[237:238], v[90:91], v[186:187]
	v_add_f64 v[210:211], v[68:69], v[184:185]
	v_fma_f64 v[92:93], v[92:93], v[162:163], -v[0:1]
	v_mul_f64 v[0:1], v[86:87], v[170:171]
	v_add_f64 v[221:222], v[68:69], -v[184:185]
	v_mul_f64 v[24:25], v[237:238], s[4:5]
	v_mul_f64 v[30:31], v[237:238], s[22:23]
	v_add_f64 v[223:224], v[178:179], -v[92:93]
	v_fma_f64 v[74:75], v[84:85], v[168:169], v[0:1]
	v_mul_f64 v[0:1], v[86:87], v[168:169]
	v_add_f64 v[217:218], v[178:179], v[92:93]
	v_mul_f64 v[235:236], v[223:224], s[34:35]
	v_add_f64 v[192:193], v[80:81], v[74:75]
	v_fma_f64 v[84:85], v[84:85], v[170:171], -v[0:1]
	v_mul_f64 v[0:1], v[66:67], v[174:175]
	v_add_f64 v[200:201], v[80:81], -v[74:75]
	v_mul_f64 v[249:250], v[217:218], s[24:25]
	v_mul_f64 v[26:27], v[217:218], s[14:15]
	v_add_f64 v[198:199], v[70:71], -v[84:85]
	v_fma_f64 v[72:73], v[64:65], v[172:173], v[0:1]
	v_mul_f64 v[0:1], v[66:67], v[172:173]
	v_add_f64 v[196:197], v[70:71], v[84:85]
	v_mul_f64 v[202:203], v[198:199], s[26:27]
	v_add_f64 v[168:169], v[100:101], v[72:73]
	v_fma_f64 v[66:67], v[64:65], v[174:175], -v[0:1]
	v_mul_f64 v[0:1], v[4:5], v[8:9]
	v_add_f64 v[194:195], v[100:101], -v[72:73]
	v_mul_f64 v[208:209], v[196:197], s[22:23]
	v_mul_f64 v[243:244], v[198:199], s[38:39]
	;; [unrolled: 1-line block ×3, first 2 shown]
	v_add_f64 v[174:175], v[82:83], -v[66:67]
	v_fma_f64 v[64:65], v[2:3], v[6:7], v[0:1]
	v_mul_f64 v[0:1], v[4:5], v[6:7]
	v_add_f64 v[170:171], v[82:83], v[66:67]
	v_mul_f64 v[204:205], v[174:175], s[20:21]
	v_add_f64 v[158:159], v[42:43], v[64:65]
	v_fma_f64 v[156:157], v[2:3], v[8:9], -v[0:1]
	v_add_f64 v[172:173], v[42:43], -v[64:65]
	v_mul_f64 v[206:207], v[170:171], s[18:19]
	v_mul_f64 v[229:230], v[174:175], s[26:27]
	;; [unrolled: 1-line block ×4, first 2 shown]
	v_fma_f64 v[12:13], v[168:169], s[18:19], -v[204:205]
	v_mul_f64 v[247:248], v[170:171], s[24:25]
	v_add_f64 v[162:163], v[102:103], -v[156:157]
	v_add_f64 v[160:161], v[102:103], v[156:157]
	v_mul_f64 v[86:87], v[162:163], s[6:7]
	v_mul_f64 v[94:95], v[160:161], s[4:5]
	;; [unrolled: 1-line block ×6, first 2 shown]
	v_fma_f64 v[0:1], v[158:159], s[4:5], -v[86:87]
	v_fma_f64 v[2:3], v[172:173], s[6:7], v[94:95]
	v_fma_f64 v[4:5], v[158:159], s[14:15], -v[225:226]
	v_fma_f64 v[6:7], v[172:173], s[16:17], v[212:213]
	;; [unrolled: 2-line block ×3, first 2 shown]
	v_add_f64 v[0:1], v[164:165], v[0:1]
	v_add_f64 v[2:3], v[166:167], v[2:3]
	;; [unrolled: 1-line block ×7, first 2 shown]
	v_fma_f64 v[12:13], v[194:195], s[20:21], v[206:207]
	v_add_f64 v[2:3], v[12:13], v[2:3]
	v_fma_f64 v[12:13], v[168:169], s[22:23], -v[229:230]
	v_add_f64 v[4:5], v[12:13], v[4:5]
	v_fma_f64 v[12:13], v[194:195], s[26:27], v[233:234]
	v_add_f64 v[6:7], v[12:13], v[6:7]
	v_fma_f64 v[12:13], v[168:169], s[24:25], -v[239:240]
	v_add_f64 v[8:9], v[12:13], v[8:9]
	;; [unrolled: 4-line block ×3, first 2 shown]
	v_fma_f64 v[12:13], v[200:201], s[26:27], v[208:209]
	v_add_f64 v[14:15], v[12:13], v[2:3]
	v_fma_f64 v[2:3], v[192:193], s[18:19], -v[243:244]
	v_mul_f64 v[12:13], v[196:197], s[28:29]
	v_add_f64 v[4:5], v[2:3], v[4:5]
	v_fma_f64 v[2:3], v[200:201], s[38:39], v[251:252]
	v_add_f64 v[6:7], v[2:3], v[6:7]
	v_mul_f64 v[2:3], v[198:199], s[30:31]
	v_fma_f64 v[16:17], v[192:193], s[28:29], -v[2:3]
	v_add_f64 v[8:9], v[16:17], v[8:9]
	v_fma_f64 v[16:17], v[200:201], s[30:31], v[12:13]
	v_add_f64 v[16:17], v[16:17], v[10:11]
	v_fma_f64 v[10:11], v[210:211], s[24:25], -v[235:236]
	v_add_f64 v[0:1], v[10:11], v[0:1]
	v_fma_f64 v[10:11], v[221:222], s[34:35], v[249:250]
	v_add_f64 v[18:19], v[10:11], v[14:15]
	v_mul_f64 v[10:11], v[223:224], s[30:31]
	v_mul_f64 v[14:15], v[217:218], s[28:29]
	v_fma_f64 v[20:21], v[210:211], s[28:29], -v[10:11]
	v_add_f64 v[28:29], v[20:21], v[4:5]
	v_fma_f64 v[4:5], v[221:222], s[30:31], v[14:15]
	v_mul_f64 v[20:21], v[223:224], s[16:17]
	v_add_f64 v[6:7], v[4:5], v[6:7]
	v_fma_f64 v[4:5], v[210:211], s[14:15], -v[20:21]
	v_add_f64 v[8:9], v[4:5], v[8:9]
	v_fma_f64 v[4:5], v[221:222], s[16:17], v[26:27]
	v_add_f64 v[32:33], v[4:5], v[16:17]
	v_mul_f64 v[4:5], v[245:246], s[42:43]
	v_mul_f64 v[16:17], v[237:238], s[14:15]
	v_fma_f64 v[22:23], v[231:232], s[14:15], -v[4:5]
	v_add_f64 v[34:35], v[22:23], v[0:1]
	v_fma_f64 v[0:1], v[241:242], s[42:43], v[16:17]
	v_mul_f64 v[22:23], v[245:246], s[6:7]
	v_add_f64 v[36:37], v[0:1], v[18:19]
	v_fma_f64 v[0:1], v[231:232], s[4:5], -v[22:23]
	v_add_f64 v[38:39], v[0:1], v[28:29]
	v_fma_f64 v[0:1], v[241:242], s[6:7], v[24:25]
	v_mul_f64 v[28:29], v[245:246], s[44:45]
	v_add_f64 v[40:41], v[0:1], v[6:7]
	v_fma_f64 v[0:1], v[231:232], s[22:23], -v[28:29]
	v_add_f64 v[6:7], v[88:89], -v[76:77]
	v_add_f64 v[60:61], v[0:1], v[8:9]
	v_fma_f64 v[0:1], v[241:242], s[44:45], v[30:31]
	v_add_f64 v[8:9], v[180:181], -v[182:183]
	v_add_f64 v[62:63], v[0:1], v[32:33]
	v_add_f64 v[0:1], v[180:181], v[182:183]
	v_mul_f64 v[18:19], v[8:9], s[30:31]
	v_mul_f64 v[190:191], v[8:9], s[46:47]
	;; [unrolled: 1-line block ×3, first 2 shown]
	v_fma_f64 v[44:45], v[253:254], s[28:29], -v[18:19]
	v_mul_f64 v[188:189], v[0:1], s[24:25]
	v_add_f64 v[44:45], v[44:45], v[34:35]
	v_fma_f64 v[34:35], v[6:7], s[30:31], v[32:33]
	v_add_f64 v[46:47], v[34:35], v[36:37]
	v_mul_f64 v[34:35], v[8:9], s[40:41]
	v_fma_f64 v[36:37], v[253:254], s[24:25], -v[34:35]
	v_add_f64 v[48:49], v[36:37], v[38:39]
	v_fma_f64 v[36:37], v[6:7], s[40:41], v[188:189]
	v_fma_f64 v[38:39], v[253:254], s[4:5], -v[190:191]
	v_add_f64 v[50:51], v[36:37], v[40:41]
	v_mul_f64 v[36:37], v[0:1], s[4:5]
	v_add_f64 v[60:61], v[38:39], v[60:61]
	v_fma_f64 v[38:39], v[6:7], s[46:47], v[36:37]
	v_add_f64 v[62:63], v[38:39], v[62:63]
	s_and_saveexec_b64 s[36:37], s[2:3]
	s_cbranch_execz .LBB0_25
; %bb.24:
	v_mul_f64 v[40:41], v[158:159], s[4:5]
	v_mul_f64 v[214:215], v[172:173], s[6:7]
	v_mul_f64 v[38:39], v[172:173], s[26:27]
	buffer_store_dword v40, off, s[56:59], 0 offset:404 ; 4-byte Folded Spill
	s_nop 0
	buffer_store_dword v41, off, s[56:59], 0 offset:408 ; 4-byte Folded Spill
	v_mul_f64 v[40:41], v[162:163], s[26:27]
	buffer_store_dword v214, off, s[56:59], 0 offset:460 ; 4-byte Folded Spill
	s_nop 0
	buffer_store_dword v215, off, s[56:59], 0 offset:464 ; 4-byte Folded Spill
	buffer_store_dword v100, off, s[56:59], 0 offset:316 ; 4-byte Folded Spill
	s_nop 0
	buffer_store_dword v101, off, s[56:59], 0 offset:320 ; 4-byte Folded Spill
	buffer_store_dword v42, off, s[56:59], 0 offset:348 ; 4-byte Folded Spill
	s_nop 0
	buffer_store_dword v43, off, s[56:59], 0 offset:352 ; 4-byte Folded Spill
	buffer_store_dword v68, off, s[56:59], 0 offset:228 ; 4-byte Folded Spill
	s_nop 0
	buffer_store_dword v69, off, s[56:59], 0 offset:232 ; 4-byte Folded Spill
	buffer_store_dword v64, off, s[56:59], 0 offset:8 ; 4-byte Folded Spill
	s_nop 0
	buffer_store_dword v65, off, s[56:59], 0 offset:12 ; 4-byte Folded Spill
	buffer_store_dword v66, off, s[56:59], 0 offset:204 ; 4-byte Folded Spill
	s_nop 0
	buffer_store_dword v67, off, s[56:59], 0 offset:208 ; 4-byte Folded Spill
	buffer_store_dword v80, off, s[56:59], 0 offset:324 ; 4-byte Folded Spill
	s_nop 0
	buffer_store_dword v81, off, s[56:59], 0 offset:328 ; 4-byte Folded Spill
	buffer_store_dword v82, off, s[56:59], 0 offset:356 ; 4-byte Folded Spill
	s_nop 0
	buffer_store_dword v83, off, s[56:59], 0 offset:360 ; 4-byte Folded Spill
	v_mul_f64 v[214:215], v[168:169], s[18:19]
	v_mul_f64 v[64:65], v[194:195], s[30:31]
	v_fma_f64 v[66:67], v[160:161], s[22:23], v[38:39]
	v_mul_f64 v[80:81], v[174:175], s[30:31]
	v_fma_f64 v[82:83], v[158:159], s[22:23], -v[40:41]
	buffer_store_dword v208, off, s[56:59], 0 offset:436 ; 4-byte Folded Spill
	s_nop 0
	buffer_store_dword v209, off, s[56:59], 0 offset:440 ; 4-byte Folded Spill
	buffer_store_dword v214, off, s[56:59], 0 offset:428 ; 4-byte Folded Spill
	s_nop 0
	buffer_store_dword v215, off, s[56:59], 0 offset:432 ; 4-byte Folded Spill
	;; [unrolled: 3-line block ×6, first 2 shown]
	v_mul_f64 v[70:71], v[200:201], s[40:41]
	v_mul_f64 v[204:205], v[198:199], s[40:41]
	v_fma_f64 v[102:103], v[170:171], s[28:29], v[64:65]
	v_add_f64 v[66:67], v[166:167], v[66:67]
	v_fma_f64 v[176:177], v[168:169], s[28:29], -v[80:81]
	v_add_f64 v[82:83], v[164:165], v[82:83]
	v_fma_f64 v[38:39], v[160:161], s[22:23], -v[38:39]
	buffer_store_dword v88, off, s[56:59], 0 offset:300 ; 4-byte Folded Spill
	s_nop 0
	buffer_store_dword v89, off, s[56:59], 0 offset:304 ; 4-byte Folded Spill
	buffer_store_dword v76, off, s[56:59], 0 offset:236 ; 4-byte Folded Spill
	s_nop 0
	buffer_store_dword v77, off, s[56:59], 0 offset:240 ; 4-byte Folded Spill
	;; [unrolled: 3-line block ×5, first 2 shown]
	v_mul_f64 v[88:89], v[221:222], s[46:47]
	v_mul_f64 v[78:79], v[223:224], s[46:47]
	v_fma_f64 v[90:91], v[196:197], s[24:25], v[70:71]
	v_fma_f64 v[178:179], v[192:193], s[24:25], -v[204:205]
	v_add_f64 v[66:67], v[102:103], v[66:67]
	v_add_f64 v[82:83], v[176:177], v[82:83]
	v_fma_f64 v[64:65], v[170:171], s[28:29], -v[64:65]
	v_add_f64 v[38:39], v[166:167], v[38:39]
	buffer_store_dword v180, off, s[56:59], 0 offset:380 ; 4-byte Folded Spill
	s_nop 0
	buffer_store_dword v181, off, s[56:59], 0 offset:384 ; 4-byte Folded Spill
	buffer_store_dword v182, off, s[56:59], 0 offset:364 ; 4-byte Folded Spill
	s_nop 0
	buffer_store_dword v183, off, s[56:59], 0 offset:368 ; 4-byte Folded Spill
	v_mul_f64 v[76:77], v[241:242], s[20:21]
	v_mul_f64 v[176:177], v[245:246], s[20:21]
	v_fma_f64 v[180:181], v[217:218], s[4:5], v[88:89]
	v_fma_f64 v[182:183], v[210:211], s[4:5], -v[78:79]
	v_add_f64 v[66:67], v[90:91], v[66:67]
	v_add_f64 v[82:83], v[178:179], v[82:83]
	v_fma_f64 v[70:71], v[196:197], s[24:25], -v[70:71]
	v_fma_f64 v[40:41], v[158:159], s[22:23], v[40:41]
	v_add_f64 v[38:39], v[64:65], v[38:39]
	buffer_store_dword v72, off, s[56:59], 0 offset:292 ; 4-byte Folded Spill
	s_nop 0
	buffer_store_dword v73, off, s[56:59], 0 offset:296 ; 4-byte Folded Spill
	v_mul_f64 v[102:103], v[6:7], s[42:43]
	v_fma_f64 v[178:179], v[237:238], s[18:19], v[76:77]
	v_fma_f64 v[72:73], v[231:232], s[18:19], -v[176:177]
	v_add_f64 v[66:67], v[180:181], v[66:67]
	v_add_f64 v[64:65], v[182:183], v[82:83]
	v_fma_f64 v[88:89], v[217:218], s[4:5], -v[88:89]
	v_fma_f64 v[80:81], v[168:169], s[28:29], v[80:81]
	v_add_f64 v[40:41], v[164:165], v[40:41]
	v_add_f64 v[38:39], v[70:71], v[38:39]
	v_mul_f64 v[90:91], v[8:9], s[42:43]
	v_fma_f64 v[82:83], v[0:1], s[14:15], v[102:103]
	v_add_f64 v[66:67], v[178:179], v[66:67]
	v_add_f64 v[64:65], v[72:73], v[64:65]
	v_mul_f64 v[72:73], v[172:173], s[40:41]
	v_fma_f64 v[76:77], v[237:238], s[18:19], -v[76:77]
	v_fma_f64 v[178:179], v[192:193], s[24:25], v[204:205]
	v_add_f64 v[40:41], v[80:81], v[40:41]
	v_add_f64 v[38:39], v[88:89], v[38:39]
	v_mul_f64 v[80:81], v[162:163], s[40:41]
	v_fma_f64 v[180:181], v[253:254], s[14:15], -v[90:91]
	v_add_f64 v[66:67], v[82:83], v[66:67]
	v_fma_f64 v[82:83], v[0:1], s[14:15], -v[102:103]
	v_fma_f64 v[78:79], v[210:211], s[4:5], v[78:79]
	v_mul_f64 v[88:89], v[194:195], s[42:43]
	v_fma_f64 v[102:103], v[160:161], s[24:25], v[72:73]
	v_add_f64 v[40:41], v[178:179], v[40:41]
	v_add_f64 v[38:39], v[76:77], v[38:39]
	v_mul_f64 v[76:77], v[174:175], s[42:43]
	v_fma_f64 v[178:179], v[158:159], s[24:25], -v[80:81]
	v_add_f64 v[64:65], v[180:181], v[64:65]
	v_fma_f64 v[176:177], v[231:232], s[18:19], v[176:177]
	v_mul_f64 v[180:181], v[200:201], s[6:7]
	v_fma_f64 v[182:183], v[170:171], s[14:15], v[88:89]
	v_add_f64 v[102:103], v[166:167], v[102:103]
	v_add_f64 v[40:41], v[78:79], v[40:41]
	v_mul_f64 v[78:79], v[198:199], s[6:7]
	v_fma_f64 v[204:205], v[168:169], s[14:15], -v[76:77]
	v_add_f64 v[178:179], v[164:165], v[178:179]
	buffer_store_dword v74, off, s[56:59], 0 offset:412 ; 4-byte Folded Spill
	s_nop 0
	buffer_store_dword v75, off, s[56:59], 0 offset:416 ; 4-byte Folded Spill
	buffer_store_dword v84, off, s[56:59], 0 offset:420 ; 4-byte Folded Spill
	s_nop 0
	buffer_store_dword v85, off, s[56:59], 0 offset:424 ; 4-byte Folded Spill
	;; [unrolled: 3-line block ×3, first 2 shown]
	v_fma_f64 v[90:91], v[253:254], s[14:15], v[90:91]
	v_mul_f64 v[74:75], v[221:222], s[44:45]
	v_fma_f64 v[84:85], v[196:197], s[4:5], v[180:181]
	v_add_f64 v[102:103], v[182:183], v[102:103]
	v_add_f64 v[176:177], v[176:177], v[40:41]
	v_mul_f64 v[182:183], v[223:224], s[44:45]
	v_fma_f64 v[92:93], v[192:193], s[4:5], -v[78:79]
	v_add_f64 v[178:179], v[204:205], v[178:179]
	v_add_f64 v[40:41], v[82:83], v[38:39]
	v_fma_f64 v[82:83], v[217:218], s[22:23], v[74:75]
	v_fma_f64 v[72:73], v[160:161], s[24:25], -v[72:73]
	v_add_f64 v[84:85], v[84:85], v[102:103]
	v_add_f64 v[38:39], v[90:91], v[176:177]
	v_mul_f64 v[90:91], v[245:246], s[30:31]
	v_fma_f64 v[102:103], v[210:211], s[22:23], -v[182:183]
	v_add_f64 v[92:93], v[92:93], v[178:179]
	buffer_store_dword v186, off, s[56:59], 0 offset:468 ; 4-byte Folded Spill
	s_nop 0
	buffer_store_dword v187, off, s[56:59], 0 offset:472 ; 4-byte Folded Spill
	v_mov_b32_e32 v187, v87
	v_fma_f64 v[80:81], v[158:159], s[24:25], v[80:81]
	v_add_f64 v[82:83], v[82:83], v[84:85]
	v_mul_f64 v[84:85], v[8:9], s[20:21]
	v_mov_b32_e32 v186, v86
	v_fma_f64 v[86:87], v[231:232], s[28:29], -v[90:91]
	v_add_f64 v[92:93], v[102:103], v[92:93]
	v_fma_f64 v[88:89], v[170:171], s[14:15], -v[88:89]
	v_add_f64 v[72:73], v[166:167], v[72:73]
	v_mul_f64 v[208:209], v[172:173], s[20:21]
	v_fma_f64 v[76:77], v[168:169], s[14:15], v[76:77]
	v_add_f64 v[80:81], v[164:165], v[80:81]
	v_fma_f64 v[180:181], v[196:197], s[4:5], -v[180:181]
	v_fma_f64 v[74:75], v[217:218], s[22:23], -v[74:75]
	v_add_f64 v[86:87], v[86:87], v[92:93]
	v_fma_f64 v[92:93], v[253:254], s[18:19], -v[84:85]
	v_add_f64 v[72:73], v[88:89], v[72:73]
	v_mul_f64 v[68:69], v[158:159], s[18:19]
	v_fma_f64 v[78:79], v[192:193], s[4:5], v[78:79]
	v_add_f64 v[76:77], v[76:77], v[80:81]
	v_mov_b32_e32 v215, v185
	v_mov_b32_e32 v214, v184
	v_mul_f64 v[184:185], v[168:169], s[24:25]
	v_add_f64 v[80:81], v[92:93], v[86:87]
	v_mul_f64 v[86:87], v[194:195], s[34:35]
	v_add_f64 v[72:73], v[180:181], v[72:73]
	v_add_f64 v[180:181], v[227:228], -v[208:209]
	v_add_f64 v[76:77], v[78:79], v[76:77]
	v_fma_f64 v[182:183], v[210:211], s[22:23], v[182:183]
	v_mul_f64 v[227:228], v[192:193], s[28:29]
	v_add_f64 v[184:185], v[184:185], v[239:240]
	v_mul_f64 v[42:43], v[172:173], s[16:17]
	v_add_f64 v[86:87], v[247:248], -v[86:87]
	v_add_f64 v[72:73], v[74:75], v[72:73]
	v_mul_f64 v[74:75], v[200:201], s[30:31]
	v_add_f64 v[180:181], v[166:167], v[180:181]
	v_add_f64 v[76:77], v[182:183], v[76:77]
	v_mul_f64 v[182:183], v[221:222], s[16:17]
	v_add_f64 v[2:3], v[227:228], v[2:3]
	v_mul_f64 v[88:89], v[194:195], s[26:27]
	v_add_f64 v[42:43], v[212:213], -v[42:43]
	v_mul_f64 v[100:101], v[158:159], s[14:15]
	v_add_f64 v[12:13], v[12:13], -v[74:75]
	v_add_f64 v[86:87], v[86:87], v[180:181]
	v_mul_f64 v[204:205], v[241:242], s[30:31]
	v_add_f64 v[26:27], v[26:27], -v[182:183]
	v_mul_f64 v[182:183], v[210:211], s[14:15]
	v_mul_f64 v[208:209], v[200:201], s[38:39]
	v_fma_f64 v[90:91], v[231:232], s[28:29], v[90:91]
	v_add_f64 v[88:89], v[233:234], -v[88:89]
	v_add_f64 v[42:43], v[166:167], v[42:43]
	v_add_f64 v[86:87], v[12:13], v[86:87]
	;; [unrolled: 1-line block ×3, first 2 shown]
	v_mul_f64 v[176:177], v[6:7], s[20:21]
	v_add_f64 v[20:21], v[182:183], v[20:21]
	v_fma_f64 v[178:179], v[237:238], s[28:29], v[204:205]
	v_mul_f64 v[102:103], v[168:169], s[22:23]
	v_fma_f64 v[204:205], v[237:238], s[28:29], -v[204:205]
	v_add_f64 v[76:77], v[90:91], v[76:77]
	v_mul_f64 v[90:91], v[221:222], s[30:31]
	v_add_f64 v[12:13], v[164:165], v[12:13]
	v_add_f64 v[208:209], v[251:252], -v[208:209]
	v_add_f64 v[100:101], v[100:101], v[225:226]
	v_add_f64 v[42:43], v[88:89], v[42:43]
	;; [unrolled: 1-line block ×3, first 2 shown]
	v_fma_f64 v[178:179], v[0:1], s[18:19], v[176:177]
	v_mul_f64 v[78:79], v[192:193], s[18:19]
	v_add_f64 v[72:73], v[204:205], v[72:73]
	v_add_f64 v[184:185], v[184:185], v[12:13]
	v_mul_f64 v[219:220], v[241:242], s[6:7]
	v_mul_f64 v[239:240], v[241:242], s[44:45]
	v_add_f64 v[102:103], v[102:103], v[229:230]
	v_fma_f64 v[176:177], v[0:1], s[18:19], -v[176:177]
	v_add_f64 v[100:101], v[164:165], v[100:101]
	v_add_f64 v[14:15], v[14:15], -v[90:91]
	v_add_f64 v[42:43], v[208:209], v[42:43]
	v_add_f64 v[2:3], v[2:3], v[184:185]
	v_mul_f64 v[180:181], v[210:211], s[28:29]
	v_mul_f64 v[233:234], v[231:232], s[22:23]
	;; [unrolled: 1-line block ×3, first 2 shown]
	v_add_f64 v[12:13], v[176:177], v[72:73]
	v_fma_f64 v[72:73], v[253:254], s[18:19], v[84:85]
	v_add_f64 v[30:31], v[30:31], -v[239:240]
	v_add_f64 v[26:27], v[26:27], v[86:87]
	v_add_f64 v[20:21], v[20:21], v[2:3]
	buffer_load_dword v2, off, s[56:59], 0 offset:460 ; 4-byte Folded Reload
	buffer_load_dword v3, off, s[56:59], 0 offset:464 ; 4-byte Folded Reload
	v_add_f64 v[78:79], v[78:79], v[243:244]
	v_add_f64 v[84:85], v[102:103], v[100:101]
	v_add_f64 v[24:25], v[24:25], -v[219:220]
	v_add_f64 v[14:15], v[14:15], v[42:43]
	v_mul_f64 v[70:71], v[194:195], s[20:21]
	v_mul_f64 v[68:69], v[231:232], s[4:5]
	v_add_f64 v[26:27], v[30:31], v[26:27]
	v_add_f64 v[30:31], v[180:181], v[10:11]
	;; [unrolled: 1-line block ×4, first 2 shown]
	v_add_f64 v[78:79], v[188:189], -v[227:228]
	v_add_f64 v[14:15], v[24:25], v[14:15]
	v_mul_f64 v[74:75], v[221:222], s[34:35]
	v_add_f64 v[22:23], v[68:69], v[22:23]
	v_add_f64 v[10:11], v[72:73], v[76:77]
	v_mul_f64 v[90:91], v[6:7], s[46:47]
	v_add_f64 v[28:29], v[28:29], v[20:21]
	v_add_f64 v[30:31], v[30:31], v[42:43]
	v_mul_f64 v[88:89], v[6:7], s[30:31]
	v_add_f64 v[20:21], v[78:79], v[14:15]
	v_add_f64 v[14:15], v[206:207], -v[70:71]
	s_mov_b32 s31, 0xbfddbe06
	v_mul_f64 v[70:71], v[194:195], s[6:7]
	v_add_f64 v[36:37], v[36:37], -v[90:91]
	v_add_f64 v[82:83], v[178:179], v[82:83]
	v_add_f64 v[30:31], v[22:23], v[30:31]
	buffer_load_dword v22, off, s[56:59], 0 offset:404 ; 4-byte Folded Reload
	buffer_load_dword v23, off, s[56:59], 0 offset:408 ; 4-byte Folded Reload
	buffer_load_dword v42, off, s[56:59], 0 offset:436 ; 4-byte Folded Reload
	buffer_load_dword v43, off, s[56:59], 0 offset:440 ; 4-byte Folded Reload
	v_mul_f64 v[178:179], v[200:201], s[26:27]
	v_mul_f64 v[247:248], v[241:242], s[42:43]
	v_fma_f64 v[78:79], v[170:171], s[4:5], v[70:71]
	v_mul_f64 v[92:93], v[192:193], s[22:23]
	v_mul_f64 v[204:205], v[210:211], s[24:25]
	;; [unrolled: 1-line block ×3, first 2 shown]
	v_add_f64 v[32:33], v[32:33], -v[88:89]
	v_mul_f64 v[251:252], v[253:254], s[28:29]
	v_mul_f64 v[88:89], v[198:199], s[16:17]
	v_add_f64 v[16:17], v[16:17], -v[247:248]
	v_fma_f64 v[70:71], v[170:171], s[4:5], -v[70:71]
	v_mov_b32_e32 v226, v157
	v_mov_b32_e32 v225, v156
	v_add_f64 v[4:5], v[212:213], v[4:5]
	v_mul_f64 v[156:157], v[253:254], s[4:5]
	v_mul_f64 v[8:9], v[8:9], s[26:27]
	v_mul_f64 v[229:230], v[253:254], s[24:25]
	v_add_f64 v[34:35], v[229:230], v[34:35]
	s_waitcnt vmcnt(4)
	v_add_f64 v[24:25], v[94:95], -v[2:3]
	v_add_f64 v[2:3], v[36:37], v[26:27]
	v_mul_f64 v[36:37], v[172:173], s[30:31]
	v_add_f64 v[26:27], v[156:157], v[190:191]
	v_add_f64 v[24:25], v[166:167], v[24:25]
	v_fma_f64 v[72:73], v[160:161], s[28:29], v[36:37]
	v_fma_f64 v[36:37], v[160:161], s[28:29], -v[36:37]
	v_add_f64 v[14:15], v[14:15], v[24:25]
	buffer_load_dword v24, off, s[56:59], 0 offset:428 ; 4-byte Folded Reload
	buffer_load_dword v25, off, s[56:59], 0 offset:432 ; 4-byte Folded Reload
	;; [unrolled: 1-line block ×4, first 2 shown]
	v_add_f64 v[72:73], v[166:167], v[72:73]
	v_add_f64 v[36:37], v[166:167], v[36:37]
	;; [unrolled: 1-line block ×3, first 2 shown]
	s_waitcnt vmcnt(6)
	v_add_f64 v[22:23], v[22:23], v[186:187]
	s_waitcnt vmcnt(4)
	v_add_f64 v[42:43], v[42:43], -v[178:179]
	v_add_f64 v[36:37], v[70:71], v[36:37]
	v_fma_f64 v[70:71], v[192:193], s[14:15], v[88:89]
	v_fma_f64 v[88:89], v[192:193], s[14:15], -v[88:89]
	v_add_f64 v[22:23], v[164:165], v[22:23]
	v_add_f64 v[14:15], v[42:43], v[14:15]
	;; [unrolled: 1-line block ×3, first 2 shown]
	s_waitcnt vmcnt(0)
	v_add_f64 v[24:25], v[24:25], v[68:69]
	v_add_f64 v[68:69], v[249:250], -v[74:75]
	buffer_load_dword v74, off, s[56:59], 0 offset:396 ; 4-byte Folded Reload
	buffer_load_dword v75, off, s[56:59], 0 offset:400 ; 4-byte Folded Reload
	;; [unrolled: 1-line block ×6, first 2 shown]
	v_add_f64 v[22:23], v[24:25], v[22:23]
	v_add_f64 v[14:15], v[68:69], v[14:15]
	v_mul_f64 v[24:25], v[200:201], s[16:17]
	v_add_f64 v[68:69], v[204:205], v[235:236]
	v_add_f64 v[22:23], v[42:43], v[22:23]
	;; [unrolled: 1-line block ×3, first 2 shown]
	v_mul_f64 v[42:43], v[221:222], s[20:21]
	v_add_f64 v[22:23], v[68:69], v[22:23]
	v_mul_f64 v[68:69], v[241:242], s[40:41]
	s_waitcnt vmcnt(4)
	v_add_f64 v[74:75], v[166:167], v[74:75]
	s_waitcnt vmcnt(2)
	v_add_f64 v[76:77], v[164:165], v[76:77]
	;; [unrolled: 2-line block ×3, first 2 shown]
	buffer_load_dword v84, off, s[56:59], 0 offset:316 ; 4-byte Folded Reload
	buffer_load_dword v85, off, s[56:59], 0 offset:320 ; 4-byte Folded Reload
	;; [unrolled: 1-line block ×4, first 2 shown]
	s_waitcnt vmcnt(2)
	v_add_f64 v[76:77], v[76:77], v[84:85]
	s_waitcnt vmcnt(0)
	v_add_f64 v[74:75], v[74:75], v[78:79]
	buffer_load_dword v78, off, s[56:59], 0 offset:324 ; 4-byte Folded Reload
	buffer_load_dword v79, off, s[56:59], 0 offset:328 ; 4-byte Folded Reload
	;; [unrolled: 1-line block ×4, first 2 shown]
	v_fma_f64 v[84:85], v[196:197], s[14:15], v[24:25]
	v_fma_f64 v[24:25], v[196:197], s[14:15], -v[24:25]
	v_add_f64 v[72:73], v[84:85], v[72:73]
	v_mul_f64 v[84:85], v[174:175], s[6:7]
	v_add_f64 v[24:25], v[24:25], v[36:37]
	v_fma_f64 v[90:91], v[168:169], s[4:5], v[84:85]
	v_fma_f64 v[84:85], v[168:169], s[4:5], -v[84:85]
	s_waitcnt vmcnt(2)
	v_add_f64 v[76:77], v[76:77], v[78:79]
	s_waitcnt vmcnt(0)
	v_add_f64 v[74:75], v[74:75], v[16:17]
	buffer_load_dword v16, off, s[56:59], 0 offset:228 ; 4-byte Folded Reload
	buffer_load_dword v17, off, s[56:59], 0 offset:232 ; 4-byte Folded Reload
	v_fma_f64 v[78:79], v[217:218], s[18:19], v[42:43]
	v_fma_f64 v[42:43], v[217:218], s[18:19], -v[42:43]
	v_add_f64 v[24:25], v[42:43], v[24:25]
	s_waitcnt vmcnt(0)
	v_add_f64 v[76:77], v[76:77], v[16:17]
	v_add_f64 v[16:17], v[32:33], v[14:15]
	buffer_load_dword v32, off, s[56:59], 0 offset:340 ; 4-byte Folded Reload
	buffer_load_dword v33, off, s[56:59], 0 offset:344 ; 4-byte Folded Reload
	v_add_f64 v[14:15], v[251:252], v[18:19]
	v_add_f64 v[18:19], v[4:5], v[22:23]
	;; [unrolled: 1-line block ×3, first 2 shown]
	buffer_load_dword v72, off, s[56:59], 0 offset:308 ; 4-byte Folded Reload
	buffer_load_dword v73, off, s[56:59], 0 offset:312 ; 4-byte Folded Reload
	;; [unrolled: 1-line block ×4, first 2 shown]
	v_mul_f64 v[78:79], v[223:224], s[20:21]
	v_mul_f64 v[4:5], v[6:7], s[26:27]
	v_fma_f64 v[6:7], v[237:238], s[24:25], v[68:69]
	v_fma_f64 v[68:69], v[237:238], s[24:25], -v[68:69]
	v_add_f64 v[14:15], v[14:15], v[18:19]
	v_add_f64 v[18:19], v[34:35], v[30:31]
	v_fma_f64 v[36:37], v[210:211], s[18:19], v[78:79]
	v_fma_f64 v[78:79], v[210:211], s[18:19], -v[78:79]
	v_add_f64 v[24:25], v[68:69], v[24:25]
	v_fma_f64 v[68:69], v[253:254], s[22:23], v[8:9]
	v_fma_f64 v[8:9], v[253:254], s[22:23], -v[8:9]
	s_waitcnt vmcnt(4)
	v_add_f64 v[32:33], v[74:75], v[32:33]
	v_mul_f64 v[74:75], v[162:163], s[30:31]
	s_waitcnt vmcnt(2)
	v_add_f64 v[72:73], v[76:77], v[72:73]
	v_mul_f64 v[76:77], v[245:246], s[40:41]
	s_waitcnt vmcnt(0)
	v_add_f64 v[32:33], v[32:33], v[86:87]
	buffer_load_dword v86, off, s[56:59], 0 offset:300 ; 4-byte Folded Reload
	buffer_load_dword v87, off, s[56:59], 0 offset:304 ; 4-byte Folded Reload
	;; [unrolled: 1-line block ×4, first 2 shown]
	v_fma_f64 v[42:43], v[231:232], s[24:25], v[76:77]
	s_waitcnt vmcnt(2)
	v_add_f64 v[72:73], v[72:73], v[86:87]
	s_waitcnt vmcnt(0)
	v_add_f64 v[32:33], v[32:33], v[92:93]
	buffer_load_dword v92, off, s[56:59], 0 offset:236 ; 4-byte Folded Reload
	buffer_load_dword v93, off, s[56:59], 0 offset:240 ; 4-byte Folded Reload
	v_fma_f64 v[86:87], v[158:159], s[28:29], v[74:75]
	v_fma_f64 v[74:75], v[158:159], s[28:29], -v[74:75]
	v_add_f64 v[86:87], v[164:165], v[86:87]
	v_add_f64 v[74:75], v[164:165], v[74:75]
	;; [unrolled: 1-line block ×8, first 2 shown]
	v_fma_f64 v[70:71], v[231:232], s[24:25], -v[76:77]
	v_fma_f64 v[76:77], v[0:1], s[22:23], -v[4:5]
	v_add_f64 v[36:37], v[42:43], v[36:37]
	v_fma_f64 v[42:43], v[0:1], s[22:23], v[4:5]
	v_add_f64 v[70:71], v[70:71], v[74:75]
	v_add_f64 v[4:5], v[68:69], v[36:37]
	s_waitcnt vmcnt(0)
	v_add_f64 v[72:73], v[72:73], v[92:93]
	buffer_load_dword v92, off, s[56:59], 0 offset:468 ; 4-byte Folded Reload
	buffer_load_dword v93, off, s[56:59], 0 offset:472 ; 4-byte Folded Reload
	s_waitcnt vmcnt(0)
	v_add_f64 v[32:33], v[32:33], v[92:93]
	buffer_load_dword v92, off, s[56:59], 0 offset:220 ; 4-byte Folded Reload
	buffer_load_dword v93, off, s[56:59], 0 offset:224 ; 4-byte Folded Reload
	;; [unrolled: 1-line block ×4, first 2 shown]
	s_waitcnt vmcnt(2)
	v_add_f64 v[72:73], v[72:73], v[92:93]
	s_waitcnt vmcnt(0)
	v_add_f64 v[32:33], v[32:33], v[84:85]
	buffer_load_dword v84, off, s[56:59], 0 offset:420 ; 4-byte Folded Reload
	buffer_load_dword v85, off, s[56:59], 0 offset:424 ; 4-byte Folded Reload
	v_add_f64 v[72:73], v[72:73], v[214:215]
	s_waitcnt vmcnt(0)
	v_add_f64 v[32:33], v[32:33], v[84:85]
	buffer_load_dword v84, off, s[56:59], 0 offset:412 ; 4-byte Folded Reload
	buffer_load_dword v85, off, s[56:59], 0 offset:416 ; 4-byte Folded Reload
	;; [unrolled: 1-line block ×4, first 2 shown]
	s_waitcnt vmcnt(2)
	v_add_f64 v[72:73], v[72:73], v[84:85]
	s_waitcnt vmcnt(0)
	v_add_f64 v[32:33], v[32:33], v[78:79]
	buffer_load_dword v78, off, s[56:59], 0 offset:292 ; 4-byte Folded Reload
	buffer_load_dword v79, off, s[56:59], 0 offset:296 ; 4-byte Folded Reload
	;; [unrolled: 1-line block ×4, first 2 shown]
	s_waitcnt vmcnt(2)
	v_add_f64 v[72:73], v[72:73], v[78:79]
	v_add_f64 v[78:79], v[6:7], v[22:23]
	;; [unrolled: 1-line block ×4, first 2 shown]
	s_waitcnt vmcnt(0)
	v_add_f64 v[22:23], v[72:73], v[0:1]
	v_add_f64 v[0:1], v[26:27], v[28:29]
	;; [unrolled: 1-line block ×3, first 2 shown]
	buffer_load_dword v8, off, s[56:59], 0 offset:180 ; 4-byte Folded Reload
	buffer_load_dword v9, off, s[56:59], 0 offset:184 ; 4-byte Folded Reload
	v_add_f64 v[28:29], v[42:43], v[78:79]
	s_waitcnt vmcnt(0)
	v_add_lshl_u32 v8, v9, v8, 4
	ds_write_b128 v8, v[22:25]
	ds_write_b128 v8, v[4:7] offset:48
	ds_write_b128 v8, v[14:17] offset:96
	;; [unrolled: 1-line block ×12, first 2 shown]
.LBB0_25:
	s_or_b64 exec, exec, s[36:37]
	s_waitcnt lgkmcnt(0)
	s_barrier
	ds_read_b128 v[72:75], v255
	ds_read_b128 v[68:71], v255 offset:1872
	ds_read_b128 v[92:95], v255 offset:13728
	;; [unrolled: 1-line block ×8, first 2 shown]
	s_and_saveexec_b64 s[2:3], s[0:1]
	s_cbranch_execz .LBB0_27
; %bb.26:
	ds_read_b128 v[60:63], v255 offset:5616
	ds_read_b128 v[48:51], v255 offset:12480
	;; [unrolled: 1-line block ×3, first 2 shown]
.LBB0_27:
	s_or_b64 exec, exec, s[2:3]
	s_waitcnt lgkmcnt(4)
	v_mul_f64 v[0:1], v[58:59], v[102:103]
	v_mul_f64 v[2:3], v[54:55], v[94:95]
	;; [unrolled: 1-line block ×4, first 2 shown]
	s_waitcnt lgkmcnt(2)
	v_mul_f64 v[8:9], v[114:115], v[90:91]
	v_mul_f64 v[12:13], v[110:111], v[82:83]
	;; [unrolled: 1-line block ×3, first 2 shown]
	s_waitcnt lgkmcnt(1)
	v_mul_f64 v[16:17], v[106:107], v[86:87]
	v_fma_f64 v[14:15], v[56:57], v[100:101], v[0:1]
	v_fma_f64 v[2:3], v[52:53], v[92:93], v[2:3]
	v_mul_f64 v[0:1], v[110:111], v[80:81]
	v_fma_f64 v[24:25], v[56:57], v[102:103], -v[4:5]
	v_fma_f64 v[6:7], v[52:53], v[94:95], -v[6:7]
	v_fma_f64 v[26:27], v[112:113], v[88:89], v[8:9]
	v_fma_f64 v[30:31], v[108:109], v[80:81], v[12:13]
	s_waitcnt lgkmcnt(0)
	v_mul_f64 v[20:21], v[98:99], v[78:79]
	v_mul_f64 v[22:23], v[98:99], v[76:77]
	v_add_f64 v[4:5], v[14:15], v[2:3]
	v_fma_f64 v[28:29], v[112:113], v[90:91], -v[10:11]
	v_fma_f64 v[32:33], v[108:109], v[82:83], -v[0:1]
	v_fma_f64 v[34:35], v[104:105], v[84:85], v[16:17]
	v_add_f64 v[12:13], v[24:25], v[6:7]
	v_add_f64 v[16:17], v[26:27], v[30:31]
	;; [unrolled: 1-line block ×3, first 2 shown]
	v_add_f64 v[10:11], v[24:25], -v[6:7]
	v_fma_f64 v[8:9], v[4:5], -0.5, v[72:73]
	v_fma_f64 v[36:37], v[96:97], v[76:77], v[20:21]
	v_fma_f64 v[38:39], v[96:97], v[78:79], -v[22:23]
	v_add_f64 v[20:21], v[74:75], v[24:25]
	v_fma_f64 v[12:13], v[12:13], -0.5, v[74:75]
	v_add_f64 v[14:15], v[14:15], -v[2:3]
	v_add_f64 v[22:23], v[68:69], v[26:27]
	v_fma_f64 v[24:25], v[16:17], -0.5, v[68:69]
	v_add_f64 v[40:41], v[28:29], -v[32:33]
	s_mov_b32 s2, 0xe8584caa
	s_mov_b32 s3, 0xbfebb67a
	;; [unrolled: 1-line block ×4, first 2 shown]
	v_add_f64 v[0:1], v[0:1], v[2:3]
	v_fma_f64 v[4:5], v[10:11], s[2:3], v[8:9]
	v_fma_f64 v[8:9], v[10:11], s[4:5], v[8:9]
	v_add_f64 v[2:3], v[20:21], v[6:7]
	v_fma_f64 v[6:7], v[14:15], s[4:5], v[12:13]
	v_fma_f64 v[10:11], v[14:15], s[2:3], v[12:13]
	v_add_f64 v[12:13], v[22:23], v[30:31]
	v_add_f64 v[14:15], v[34:35], v[36:37]
	v_fma_f64 v[16:17], v[40:41], s[2:3], v[24:25]
	v_fma_f64 v[20:21], v[40:41], s[4:5], v[24:25]
	v_add_f64 v[24:25], v[70:71], v[28:29]
	v_add_f64 v[26:27], v[26:27], -v[30:31]
	v_add_f64 v[30:31], v[64:65], v[34:35]
	v_add_f64 v[34:35], v[34:35], -v[36:37]
	v_fma_f64 v[40:41], v[14:15], -0.5, v[64:65]
	s_barrier
	v_add_f64 v[14:15], v[24:25], v[32:33]
	v_mul_f64 v[18:19], v[106:107], v[84:85]
	v_add_f64 v[24:25], v[30:31], v[36:37]
	buffer_load_dword v36, off, s[56:59], 0 offset:244 ; 4-byte Folded Reload
	v_add_f64 v[42:43], v[28:29], v[32:33]
	v_fma_f64 v[18:19], v[104:105], v[86:87], -v[18:19]
	v_fma_f64 v[28:29], v[42:43], -0.5, v[70:71]
	v_add_f64 v[22:23], v[18:19], v[38:39]
	v_add_f64 v[42:43], v[18:19], -v[38:39]
	v_add_f64 v[52:53], v[66:67], v[18:19]
	v_fma_f64 v[18:19], v[26:27], s[4:5], v[28:29]
	v_fma_f64 v[54:55], v[22:23], -0.5, v[66:67]
	v_fma_f64 v[22:23], v[26:27], s[2:3], v[28:29]
	v_add_f64 v[26:27], v[52:53], v[38:39]
	v_fma_f64 v[28:29], v[42:43], s[2:3], v[40:41]
	v_fma_f64 v[32:33], v[42:43], s[4:5], v[40:41]
	s_waitcnt vmcnt(0)
	ds_write_b128 v36, v[0:3]
	ds_write_b128 v36, v[4:7] offset:624
	ds_write_b128 v36, v[8:11] offset:1248
	ds_write_b128 v216, v[12:15]
	ds_write_b128 v216, v[16:19] offset:624
	ds_write_b128 v216, v[20:23] offset:1248
	buffer_load_dword v0, off, s[56:59], 0 offset:252 ; 4-byte Folded Reload
	v_fma_f64 v[30:31], v[34:35], s[4:5], v[54:55]
	v_fma_f64 v[34:35], v[34:35], s[2:3], v[54:55]
	s_waitcnt vmcnt(0)
	ds_write_b128 v0, v[24:27]
	ds_write_b128 v0, v[28:31] offset:624
	ds_write_b128 v0, v[32:35] offset:1248
	s_and_saveexec_b64 s[6:7], s[0:1]
	s_cbranch_execz .LBB0_29
; %bb.28:
	buffer_load_dword v12, off, s[56:59], 0 offset:276 ; 4-byte Folded Reload
	buffer_load_dword v13, off, s[56:59], 0 offset:280 ; 4-byte Folded Reload
	;; [unrolled: 1-line block ×8, first 2 shown]
	s_waitcnt vmcnt(4)
	v_mul_f64 v[0:1], v[14:15], v[48:49]
	s_waitcnt vmcnt(0)
	v_mul_f64 v[2:3], v[10:11], v[44:45]
	v_mul_f64 v[4:5], v[14:15], v[50:51]
	;; [unrolled: 1-line block ×3, first 2 shown]
	v_fma_f64 v[0:1], v[12:13], v[50:51], -v[0:1]
	v_fma_f64 v[2:3], v[8:9], v[46:47], -v[2:3]
	v_fma_f64 v[4:5], v[12:13], v[48:49], v[4:5]
	v_fma_f64 v[6:7], v[8:9], v[44:45], v[6:7]
	v_add_f64 v[14:15], v[62:63], v[0:1]
	v_add_f64 v[8:9], v[0:1], v[2:3]
	v_add_f64 v[16:17], v[0:1], -v[2:3]
	v_add_f64 v[10:11], v[4:5], v[6:7]
	v_add_f64 v[12:13], v[4:5], -v[6:7]
	v_add_f64 v[4:5], v[60:61], v[4:5]
	v_add_f64 v[2:3], v[14:15], v[2:3]
	v_fma_f64 v[8:9], v[8:9], -0.5, v[62:63]
	v_fma_f64 v[18:19], v[10:11], -0.5, v[60:61]
	v_add_f64 v[0:1], v[4:5], v[6:7]
	v_fma_f64 v[6:7], v[12:13], s[2:3], v[8:9]
	v_fma_f64 v[10:11], v[12:13], s[4:5], v[8:9]
	buffer_load_dword v12, off, s[56:59], 0 offset:188 ; 4-byte Folded Reload
	buffer_load_dword v13, off, s[56:59], 0 offset:196 ; 4-byte Folded Reload
	v_fma_f64 v[8:9], v[16:17], s[2:3], v[18:19]
	v_fma_f64 v[4:5], v[16:17], s[4:5], v[18:19]
	s_movk_i32 s2, 0x75
	s_waitcnt vmcnt(0)
	v_mad_legacy_u16 v12, v12, s2, v13
	v_lshlrev_b32_e32 v12, 4, v12
	ds_write_b128 v12, v[0:3]
	ds_write_b128 v12, v[8:11] offset:624
	ds_write_b128 v12, v[4:7] offset:1248
.LBB0_29:
	s_or_b64 exec, exec, s[6:7]
	s_waitcnt lgkmcnt(0)
	s_barrier
	ds_read_b128 v[0:3], v255 offset:1872
	ds_read_b128 v[8:11], v255 offset:5616
	;; [unrolled: 1-line block ×3, first 2 shown]
	s_mov_b32 s14, 0xf8bb580b
	s_mov_b32 s15, 0xbfe14ced
	s_waitcnt lgkmcnt(2)
	v_mul_f64 v[12:13], v[142:143], v[2:3]
	v_mul_f64 v[16:17], v[142:143], v[0:1]
	s_waitcnt lgkmcnt(1)
	v_mul_f64 v[22:23], v[126:127], v[8:9]
	s_mov_b32 s18, 0x8764f0ba
	s_mov_b32 s4, 0xd9c712b6
	;; [unrolled: 1-line block ×5, first 2 shown]
	v_fma_f64 v[24:25], v[140:141], v[0:1], v[12:13]
	ds_read_b128 v[12:15], v255
	s_waitcnt lgkmcnt(1)
	v_mul_f64 v[18:19], v[134:135], v[6:7]
	v_mul_f64 v[20:21], v[134:135], v[4:5]
	v_fma_f64 v[26:27], v[140:141], v[2:3], -v[16:17]
	ds_read_b128 v[0:3], v255 offset:7488
	v_mul_f64 v[16:17], v[126:127], v[10:11]
	v_fma_f64 v[44:45], v[124:125], v[10:11], -v[22:23]
	s_mov_b32 s28, 0x7f775887
	s_mov_b32 s34, 0xfd768dbf
	v_fma_f64 v[28:29], v[132:133], v[4:5], v[18:19]
	v_fma_f64 v[30:31], v[132:133], v[6:7], -v[20:21]
	ds_read_b128 v[4:7], v255 offset:9360
	s_waitcnt lgkmcnt(1)
	v_mul_f64 v[32:33], v[122:123], v[2:3]
	v_mul_f64 v[34:35], v[122:123], v[0:1]
	v_add_f64 v[18:19], v[12:13], v[24:25]
	v_add_f64 v[20:21], v[14:15], v[26:27]
	v_fma_f64 v[42:43], v[124:125], v[8:9], v[16:17]
	s_waitcnt lgkmcnt(0)
	v_mul_f64 v[16:17], v[150:151], v[6:7]
	s_mov_b32 s36, 0x9bcd5057
	s_mov_b32 s19, 0x3feaeb8c
	v_fma_f64 v[32:33], v[120:121], v[0:1], v[32:33]
	v_fma_f64 v[34:35], v[120:121], v[2:3], -v[34:35]
	ds_read_b128 v[0:3], v255 offset:11232
	buffer_load_dword v94, off, s[56:59], 0 offset:28 ; 4-byte Folded Reload
	buffer_load_dword v95, off, s[56:59], 0 offset:32 ; 4-byte Folded Reload
	v_add_f64 v[8:9], v[18:19], v[28:29]
	v_add_f64 v[10:11], v[20:21], v[30:31]
	v_mul_f64 v[18:19], v[150:151], v[4:5]
	s_waitcnt lgkmcnt(0)
	v_mul_f64 v[36:37], v[138:139], v[2:3]
	v_fma_f64 v[46:47], v[148:149], v[4:5], v[16:17]
	v_mul_f64 v[38:39], v[138:139], v[0:1]
	s_mov_b32 s5, 0x3fda9628
	s_mov_b32 s17, 0xbfefac9e
	v_add_f64 v[20:21], v[8:9], v[42:43]
	v_add_f64 v[22:23], v[10:11], v[44:45]
	ds_read_b128 v[8:11], v255 offset:13104
	v_fma_f64 v[48:49], v[148:149], v[6:7], -v[18:19]
	v_fma_f64 v[0:1], v[136:137], v[0:1], v[36:37]
	v_fma_f64 v[2:3], v[136:137], v[2:3], -v[38:39]
	s_mov_b32 s23, 0xbfc2375f
	s_waitcnt lgkmcnt(0)
	v_mul_f64 v[54:55], v[130:131], v[10:11]
	v_add_f64 v[50:51], v[20:21], v[32:33]
	v_add_f64 v[52:53], v[22:23], v[34:35]
	ds_read_b128 v[4:7], v255 offset:14976
	ds_read_b128 v[16:19], v255 offset:16848
	;; [unrolled: 1-line block ×3, first 2 shown]
	v_mul_f64 v[56:57], v[130:131], v[8:9]
	s_mov_b32 s27, 0xbfe82f19
	s_mov_b32 s29, 0xbfe4f49e
	;; [unrolled: 1-line block ×3, first 2 shown]
	s_waitcnt lgkmcnt(0)
	v_mul_f64 v[58:59], v[146:147], v[20:21]
	v_add_f64 v[36:37], v[50:51], v[46:47]
	v_add_f64 v[38:39], v[52:53], v[48:49]
	v_mul_f64 v[50:51], v[118:119], v[6:7]
	v_fma_f64 v[8:9], v[128:129], v[8:9], v[54:55]
	v_mul_f64 v[52:53], v[118:119], v[4:5]
	v_fma_f64 v[10:11], v[128:129], v[10:11], -v[56:57]
	v_mul_f64 v[54:55], v[154:155], v[18:19]
	v_mul_f64 v[56:57], v[154:155], v[16:17]
	v_add_f64 v[36:37], v[36:37], v[0:1]
	v_add_f64 v[38:39], v[38:39], v[2:3]
	v_mul_f64 v[60:61], v[146:147], v[22:23]
	v_fma_f64 v[22:23], v[144:145], v[22:23], -v[58:59]
	v_fma_f64 v[4:5], v[116:117], v[4:5], v[50:51]
	v_fma_f64 v[6:7], v[116:117], v[6:7], -v[52:53]
	v_fma_f64 v[16:17], v[152:153], v[16:17], v[54:55]
	v_fma_f64 v[18:19], v[152:153], v[18:19], -v[56:57]
	v_add_f64 v[36:37], v[36:37], v[8:9]
	v_add_f64 v[38:39], v[38:39], v[10:11]
	v_fma_f64 v[20:21], v[144:145], v[20:21], v[60:61]
	v_add_f64 v[50:51], v[26:27], -v[22:23]
	v_add_f64 v[26:27], v[26:27], v[22:23]
	s_mov_b32 s37, 0xbfeeb42a
	v_add_f64 v[86:87], v[28:29], v[16:17]
	v_add_f64 v[82:83], v[30:31], -v[18:19]
	v_add_f64 v[36:37], v[36:37], v[4:5]
	v_add_f64 v[38:39], v[38:39], v[6:7]
	;; [unrolled: 1-line block ×3, first 2 shown]
	v_mul_f64 v[54:55], v[50:51], s[14:15]
	v_add_f64 v[24:25], v[24:25], -v[20:21]
	v_mul_f64 v[56:57], v[26:27], s[18:19]
	v_mul_f64 v[66:67], v[50:51], s[16:17]
	;; [unrolled: 1-line block ×3, first 2 shown]
	v_add_f64 v[36:37], v[36:37], v[16:17]
	v_add_f64 v[38:39], v[38:39], v[18:19]
	v_mul_f64 v[72:73], v[50:51], s[26:27]
	v_fma_f64 v[58:59], v[52:53], s[18:19], v[54:55]
	v_mul_f64 v[74:75], v[26:27], s[28:29]
	v_add_f64 v[18:19], v[30:31], v[18:19]
	v_add_f64 v[16:17], v[28:29], -v[16:17]
	s_mov_b32 s21, 0x3fe14ced
	v_add_f64 v[36:37], v[36:37], v[20:21]
	v_mul_f64 v[20:21], v[26:27], s[4:5]
	v_mul_f64 v[26:27], v[26:27], s[36:37]
	s_mov_b32 s20, s14
	s_mov_b32 s7, 0x3fed1bb4
	s_mov_b32 s25, 0x3fefac9e
	s_mov_b32 s24, s16
	s_mov_b32 s31, 0x3fe82f19
	s_mov_b32 s30, s26
	s_mov_b32 s39, 0x3fd207e7
	s_mov_b32 s38, s34
	v_add_f64 v[38:39], v[38:39], v[22:23]
	v_fma_f64 v[22:23], v[24:25], s[20:21], v[56:57]
	v_fma_f64 v[54:55], v[52:53], s[18:19], -v[54:55]
	v_add_f64 v[58:59], v[12:13], v[58:59]
	s_waitcnt vmcnt(1)
	v_mad_u64_u32 v[40:41], s[2:3], s10, v94, 0
	s_mov_b32 s2, 0x8eee2c13
	s_mov_b32 s3, 0xbfed1bb4
	v_mul_f64 v[60:61], v[50:51], s[2:3]
	v_mul_f64 v[50:51], v[50:51], s[34:35]
	;; [unrolled: 1-line block ×3, first 2 shown]
	s_mov_b32 s6, s2
	v_fma_f64 v[56:57], v[24:25], s[14:15], v[56:57]
	v_fma_f64 v[64:65], v[24:25], s[6:7], v[20:21]
	;; [unrolled: 1-line block ×5, first 2 shown]
	v_fma_f64 v[60:61], v[52:53], s[4:5], -v[60:61]
	v_fma_f64 v[76:77], v[24:25], s[24:25], v[70:71]
	v_fma_f64 v[66:67], v[52:53], s[22:23], -v[66:67]
	v_fma_f64 v[70:71], v[24:25], s[16:17], v[70:71]
	v_fma_f64 v[78:79], v[52:53], s[28:29], v[72:73]
	;; [unrolled: 1-line block ×3, first 2 shown]
	v_fma_f64 v[72:73], v[52:53], s[28:29], -v[72:73]
	v_fma_f64 v[74:75], v[24:25], s[26:27], v[74:75]
	v_fma_f64 v[30:31], v[52:53], s[36:37], v[50:51]
	;; [unrolled: 1-line block ×3, first 2 shown]
	v_mul_f64 v[88:89], v[18:19], s[4:5]
	v_fma_f64 v[50:51], v[52:53], s[36:37], -v[50:51]
	v_fma_f64 v[24:25], v[24:25], s[34:35], v[26:27]
	v_mul_f64 v[52:53], v[82:83], s[26:27]
	v_fma_f64 v[90:91], v[86:87], s[4:5], v[28:29]
	v_add_f64 v[22:23], v[14:15], v[22:23]
	v_add_f64 v[54:55], v[12:13], v[54:55]
	;; [unrolled: 1-line block ×17, first 2 shown]
	v_mul_f64 v[84:85], v[18:19], s[28:29]
	v_fma_f64 v[92:93], v[16:17], s[6:7], v[88:89]
	v_add_f64 v[12:13], v[12:13], v[50:51]
	v_add_f64 v[14:15], v[14:15], v[24:25]
	v_fma_f64 v[24:25], v[86:87], s[4:5], -v[28:29]
	v_fma_f64 v[28:29], v[16:17], s[2:3], v[88:89]
	v_fma_f64 v[50:51], v[86:87], s[28:29], v[52:53]
	v_add_f64 v[58:59], v[90:91], v[58:59]
	v_mul_f64 v[90:91], v[82:83], s[38:39]
	v_fma_f64 v[88:89], v[16:17], s[30:31], v[84:85]
	v_add_f64 v[22:23], v[92:93], v[22:23]
	v_mul_f64 v[92:93], v[18:19], s[36:37]
	v_add_f64 v[24:25], v[24:25], v[54:55]
	v_add_f64 v[28:29], v[28:29], v[56:57]
	;; [unrolled: 1-line block ×3, first 2 shown]
	v_fma_f64 v[56:57], v[16:17], s[26:27], v[84:85]
	v_fma_f64 v[62:63], v[86:87], s[36:37], v[90:91]
	v_mul_f64 v[84:85], v[82:83], s[24:25]
	v_add_f64 v[54:55], v[88:89], v[64:65]
	v_fma_f64 v[52:53], v[86:87], s[28:29], -v[52:53]
	v_fma_f64 v[64:65], v[16:17], s[34:35], v[92:93]
	v_mul_f64 v[88:89], v[18:19], s[22:23]
	v_fma_f64 v[92:93], v[16:17], s[38:39], v[92:93]
	v_add_f64 v[20:21], v[56:57], v[20:21]
	v_add_f64 v[56:57], v[62:63], v[68:69]
	v_fma_f64 v[62:63], v[86:87], s[22:23], v[84:85]
	v_mul_f64 v[82:83], v[82:83], s[20:21]
	v_add_f64 v[52:53], v[52:53], v[60:61]
	v_add_f64 v[60:61], v[64:65], v[76:77]
	v_fma_f64 v[76:77], v[16:17], s[24:25], v[88:89]
	v_add_f64 v[68:69], v[92:93], v[70:71]
	v_fma_f64 v[70:71], v[86:87], s[22:23], -v[84:85]
	v_mul_f64 v[18:19], v[18:19], s[18:19]
	v_add_f64 v[62:63], v[62:63], v[78:79]
	v_add_f64 v[78:79], v[44:45], -v[6:7]
	v_fma_f64 v[64:65], v[16:17], s[16:17], v[88:89]
	v_add_f64 v[6:7], v[44:45], v[6:7]
	v_fma_f64 v[90:91], v[86:87], s[36:37], -v[90:91]
	v_add_f64 v[44:45], v[70:71], v[72:73]
	v_add_f64 v[70:71], v[76:77], v[74:75]
	v_fma_f64 v[72:73], v[86:87], s[18:19], v[82:83]
	v_fma_f64 v[74:75], v[16:17], s[14:15], v[18:19]
	v_add_f64 v[76:77], v[42:43], v[4:5]
	v_add_f64 v[4:5], v[42:43], -v[4:5]
	v_mul_f64 v[42:43], v[78:79], s[16:17]
	v_add_f64 v[64:65], v[64:65], v[80:81]
	v_mul_f64 v[80:81], v[6:7], s[22:23]
	v_fma_f64 v[82:83], v[86:87], s[18:19], -v[82:83]
	v_fma_f64 v[16:17], v[16:17], s[20:21], v[18:19]
	v_add_f64 v[18:19], v[72:73], v[26:27]
	v_add_f64 v[26:27], v[74:75], v[30:31]
	v_mul_f64 v[30:31], v[78:79], s[38:39]
	v_mul_f64 v[72:73], v[6:7], s[36:37]
	v_fma_f64 v[74:75], v[76:77], s[22:23], v[42:43]
	v_fma_f64 v[84:85], v[4:5], s[24:25], v[80:81]
	v_add_f64 v[12:13], v[82:83], v[12:13]
	v_add_f64 v[14:15], v[16:17], v[14:15]
	v_fma_f64 v[16:17], v[76:77], s[22:23], -v[42:43]
	v_fma_f64 v[42:43], v[4:5], s[16:17], v[80:81]
	v_fma_f64 v[80:81], v[76:77], s[36:37], v[30:31]
	;; [unrolled: 1-line block ×3, first 2 shown]
	v_add_f64 v[58:59], v[74:75], v[58:59]
	v_mul_f64 v[74:75], v[78:79], s[6:7]
	v_add_f64 v[22:23], v[84:85], v[22:23]
	v_mul_f64 v[84:85], v[6:7], s[4:5]
	v_add_f64 v[16:17], v[16:17], v[24:25]
	v_add_f64 v[24:25], v[42:43], v[28:29]
	;; [unrolled: 1-line block ×4, first 2 shown]
	v_fma_f64 v[50:51], v[4:5], s[38:39], v[72:73]
	v_fma_f64 v[54:55], v[76:77], s[4:5], v[74:75]
	v_mul_f64 v[80:81], v[78:79], s[14:15]
	v_add_f64 v[66:67], v[90:91], v[66:67]
	v_fma_f64 v[30:31], v[76:77], s[36:37], -v[30:31]
	v_fma_f64 v[72:73], v[4:5], s[2:3], v[84:85]
	v_mul_f64 v[82:83], v[6:7], s[18:19]
	v_fma_f64 v[74:75], v[76:77], s[4:5], -v[74:75]
	v_fma_f64 v[84:85], v[4:5], s[6:7], v[84:85]
	v_add_f64 v[20:21], v[50:51], v[20:21]
	v_add_f64 v[50:51], v[54:55], v[56:57]
	v_fma_f64 v[54:55], v[76:77], s[18:19], v[80:81]
	v_add_f64 v[30:31], v[30:31], v[52:53]
	v_add_f64 v[52:53], v[72:73], v[60:61]
	;; [unrolled: 3-line block ×3, first 2 shown]
	v_mul_f64 v[68:69], v[78:79], s[26:27]
	v_mul_f64 v[6:7], v[6:7], s[28:29]
	v_fma_f64 v[72:73], v[76:77], s[18:19], -v[80:81]
	v_add_f64 v[54:55], v[54:55], v[62:63]
	v_add_f64 v[62:63], v[34:35], -v[10:11]
	v_fma_f64 v[74:75], v[4:5], s[14:15], v[82:83]
	v_add_f64 v[56:57], v[56:57], v[64:65]
	v_add_f64 v[10:11], v[34:35], v[10:11]
	v_fma_f64 v[34:35], v[76:77], s[28:29], v[68:69]
	v_fma_f64 v[64:65], v[4:5], s[30:31], v[6:7]
	v_add_f64 v[44:45], v[72:73], v[44:45]
	v_add_f64 v[72:73], v[32:33], v[8:9]
	v_add_f64 v[8:9], v[32:33], -v[8:9]
	v_mul_f64 v[32:33], v[62:63], s[26:27]
	v_add_f64 v[70:71], v[74:75], v[70:71]
	v_mul_f64 v[74:75], v[10:11], s[28:29]
	v_add_f64 v[18:19], v[34:35], v[18:19]
	v_add_f64 v[26:27], v[64:65], v[26:27]
	v_fma_f64 v[34:35], v[76:77], s[28:29], -v[68:69]
	v_fma_f64 v[4:5], v[4:5], s[26:27], v[6:7]
	v_mul_f64 v[6:7], v[62:63], s[24:25]
	v_mul_f64 v[64:65], v[10:11], s[22:23]
	v_fma_f64 v[68:69], v[72:73], s[28:29], v[32:33]
	v_fma_f64 v[32:33], v[72:73], s[28:29], -v[32:33]
	v_fma_f64 v[76:77], v[8:9], s[30:31], v[74:75]
	v_fma_f64 v[74:75], v[8:9], s[26:27], v[74:75]
	v_add_f64 v[12:13], v[34:35], v[12:13]
	v_add_f64 v[4:5], v[4:5], v[14:15]
	v_fma_f64 v[14:15], v[72:73], s[22:23], v[6:7]
	v_fma_f64 v[34:35], v[8:9], s[16:17], v[64:65]
	v_add_f64 v[58:59], v[68:69], v[58:59]
	v_add_f64 v[16:17], v[32:33], v[16:17]
	v_mul_f64 v[32:33], v[62:63], s[14:15]
	v_mul_f64 v[68:69], v[10:11], s[18:19]
	v_fma_f64 v[6:7], v[72:73], s[22:23], -v[6:7]
	v_fma_f64 v[64:65], v[8:9], s[24:25], v[64:65]
	v_add_f64 v[22:23], v[76:77], v[22:23]
	v_add_f64 v[24:25], v[74:75], v[24:25]
	;; [unrolled: 1-line block ×4, first 2 shown]
	v_mul_f64 v[34:35], v[62:63], s[34:35]
	v_mul_f64 v[42:43], v[10:11], s[36:37]
	v_fma_f64 v[74:75], v[72:73], s[18:19], v[32:33]
	v_fma_f64 v[76:77], v[8:9], s[20:21], v[68:69]
	v_fma_f64 v[32:33], v[72:73], s[18:19], -v[32:33]
	v_fma_f64 v[68:69], v[8:9], s[14:15], v[68:69]
	v_add_f64 v[30:31], v[6:7], v[30:31]
	v_add_f64 v[20:21], v[64:65], v[20:21]
	v_add_f64 v[64:65], v[48:49], -v[2:3]
	v_add_f64 v[48:49], v[48:49], v[2:3]
	v_mul_f64 v[2:3], v[62:63], s[6:7]
	v_mul_f64 v[6:7], v[10:11], s[4:5]
	v_fma_f64 v[78:79], v[72:73], s[36:37], v[34:35]
	v_fma_f64 v[80:81], v[8:9], s[38:39], v[42:43]
	v_add_f64 v[32:33], v[32:33], v[60:61]
	v_add_f64 v[60:61], v[68:69], v[66:67]
	v_fma_f64 v[10:11], v[72:73], s[36:37], -v[34:35]
	v_fma_f64 v[34:35], v[8:9], s[34:35], v[42:43]
	v_add_f64 v[42:43], v[46:47], v[0:1]
	v_add_f64 v[46:47], v[46:47], -v[0:1]
	v_mul_f64 v[62:63], v[64:65], s[34:35]
	v_mul_f64 v[66:67], v[48:49], s[36:37]
	v_fma_f64 v[0:1], v[72:73], s[4:5], v[2:3]
	v_fma_f64 v[68:69], v[8:9], s[2:3], v[6:7]
	v_add_f64 v[44:45], v[10:11], v[44:45]
	v_add_f64 v[70:71], v[34:35], v[70:71]
	v_fma_f64 v[2:3], v[72:73], s[4:5], -v[2:3]
	v_fma_f64 v[6:7], v[8:9], s[6:7], v[6:7]
	v_fma_f64 v[8:9], v[42:43], s[36:37], v[62:63]
	;; [unrolled: 1-line block ×3, first 2 shown]
	v_add_f64 v[34:35], v[0:1], v[18:19]
	v_add_f64 v[68:69], v[68:69], v[26:27]
	v_mul_f64 v[18:19], v[64:65], s[20:21]
	v_mul_f64 v[26:27], v[48:49], s[18:19]
	v_add_f64 v[50:51], v[74:75], v[50:51]
	v_add_f64 v[72:73], v[2:3], v[12:13]
	;; [unrolled: 1-line block ×5, first 2 shown]
	v_fma_f64 v[4:5], v[42:43], s[36:37], -v[62:63]
	v_fma_f64 v[6:7], v[46:47], s[34:35], v[66:67]
	v_fma_f64 v[8:9], v[42:43], s[18:19], v[18:19]
	;; [unrolled: 1-line block ×3, first 2 shown]
	v_mul_f64 v[22:23], v[64:65], s[26:27]
	v_fma_f64 v[12:13], v[42:43], s[18:19], -v[18:19]
	v_fma_f64 v[18:19], v[46:47], s[20:21], v[26:27]
	v_mul_f64 v[26:27], v[48:49], s[28:29]
	v_add_f64 v[4:5], v[4:5], v[16:17]
	v_add_f64 v[6:7], v[6:7], v[24:25]
	;; [unrolled: 1-line block ×3, first 2 shown]
	v_mul_f64 v[24:25], v[64:65], s[6:7]
	v_fma_f64 v[16:17], v[42:43], s[28:29], v[22:23]
	v_add_f64 v[52:53], v[76:77], v[52:53]
	v_add_f64 v[14:15], v[18:19], v[20:21]
	v_fma_f64 v[18:19], v[46:47], s[30:31], v[26:27]
	v_fma_f64 v[20:21], v[42:43], s[28:29], -v[22:23]
	v_fma_f64 v[22:23], v[46:47], s[26:27], v[26:27]
	v_mul_f64 v[26:27], v[48:49], s[4:5]
	v_add_f64 v[10:11], v[10:11], v[28:29]
	v_add_f64 v[12:13], v[12:13], v[30:31]
	v_mul_f64 v[28:29], v[64:65], s[16:17]
	v_mul_f64 v[30:31], v[48:49], s[22:23]
	v_add_f64 v[54:55], v[78:79], v[54:55]
	v_add_f64 v[56:57], v[80:81], v[56:57]
	;; [unrolled: 1-line block ×3, first 2 shown]
	v_fma_f64 v[32:33], v[42:43], s[4:5], v[24:25]
	v_fma_f64 v[48:49], v[46:47], s[2:3], v[26:27]
	v_add_f64 v[18:19], v[18:19], v[52:53]
	v_fma_f64 v[52:53], v[42:43], s[22:23], v[28:29]
	v_fma_f64 v[58:59], v[46:47], s[24:25], v[30:31]
	v_add_f64 v[16:17], v[16:17], v[50:51]
	v_fma_f64 v[50:51], v[42:43], s[4:5], -v[24:25]
	v_fma_f64 v[42:43], v[42:43], s[22:23], -v[28:29]
	v_fma_f64 v[30:31], v[46:47], s[16:17], v[30:31]
	v_fma_f64 v[46:47], v[46:47], s[6:7], v[26:27]
	v_add_f64 v[24:25], v[32:33], v[54:55]
	v_add_f64 v[26:27], v[48:49], v[56:57]
	;; [unrolled: 1-line block ×9, first 2 shown]
	ds_write_b128 v255, v[36:39]
	ds_write_b128 v255, v[0:3] offset:1872
	ds_write_b128 v255, v[8:11] offset:3744
	;; [unrolled: 1-line block ×10, first 2 shown]
	s_waitcnt vmcnt(0) lgkmcnt(0)
	s_barrier
	ds_read_b128 v[0:3], v255
	ds_read_b128 v[4:7], v255 offset:1872
	buffer_load_dword v14, off, s[56:59], 0 offset:164 ; 4-byte Folded Reload
	buffer_load_dword v15, off, s[56:59], 0 offset:168 ; 4-byte Folded Reload
	;; [unrolled: 1-line block ×4, first 2 shown]
	v_mov_b32_e32 v8, v41
	v_mov_b32_e32 v24, s13
	s_mul_hi_u32 s7, s8, 0xfffffd1b
	s_mul_i32 s6, s9, 0xfffffd1b
	s_sub_i32 s7, s7, s8
	s_add_i32 s7, s7, s6
	s_mul_i32 s6, s8, 0xfffffd1b
	s_lshl_b64 s[6:7], s[6:7], 4
	s_waitcnt vmcnt(0) lgkmcnt(1)
	v_mul_f64 v[9:10], v[16:17], v[2:3]
	v_mad_u64_u32 v[11:12], s[2:3], s11, v94, v[8:9]
	v_mul_f64 v[12:13], v[16:17], v[0:1]
	v_fma_f64 v[0:1], v[14:15], v[0:1], v[9:10]
	buffer_load_dword v9, off, s[56:59], 0  ; 4-byte Folded Reload
	v_mov_b32_e32 v41, v11
	v_lshlrev_b64 v[18:19], 4, v[40:41]
	v_add_co_u32_e32 v25, vcc, s12, v18
	v_fma_f64 v[2:3], v[14:15], v[2:3], -v[12:13]
	v_addc_co_u32_e32 v24, vcc, v24, v19, vcc
	s_waitcnt vmcnt(0)
	v_mad_u64_u32 v[16:17], s[2:3], s8, v9, 0
	s_mov_b32 s2, 0x768d3a48
	s_mov_b32 s3, 0x3f4975f4
	v_mov_b32_e32 v8, v17
	v_mad_u64_u32 v[12:13], s[4:5], s9, v9, v[8:9]
	ds_read_b128 v[8:11], v255 offset:6864
	v_mul_f64 v[0:1], v[0:1], s[2:3]
	v_mov_b32_e32 v17, v12
	ds_read_b128 v[12:15], v255 offset:3744
	buffer_load_dword v26, off, s[56:59], 0 offset:36 ; 4-byte Folded Reload
	buffer_load_dword v27, off, s[56:59], 0 offset:40 ; 4-byte Folded Reload
	buffer_load_dword v28, off, s[56:59], 0 offset:44 ; 4-byte Folded Reload
	buffer_load_dword v29, off, s[56:59], 0 offset:48 ; 4-byte Folded Reload
	v_mul_f64 v[2:3], v[2:3], s[2:3]
	v_lshlrev_b64 v[16:17], 4, v[16:17]
	s_mul_i32 s4, s9, 0x1ad
	s_mul_hi_u32 s5, s8, 0x1ad
	s_add_i32 s5, s5, s4
	s_mul_i32 s4, s8, 0x1ad
	s_lshl_b64 s[4:5], s[4:5], 4
	s_waitcnt vmcnt(0) lgkmcnt(1)
	v_mul_f64 v[20:21], v[28:29], v[10:11]
	v_mul_f64 v[22:23], v[28:29], v[8:9]
	v_fma_f64 v[18:19], v[26:27], v[8:9], v[20:21]
	v_fma_f64 v[20:21], v[26:27], v[10:11], -v[22:23]
	v_add_co_u32_e32 v22, vcc, v25, v16
	v_addc_co_u32_e32 v23, vcc, v24, v17, vcc
	global_store_dwordx4 v[22:23], v[0:3], off
	ds_read_b128 v[8:11], v255 offset:13728
	v_mul_f64 v[0:1], v[18:19], s[2:3]
	ds_read_b128 v[16:19], v255 offset:15600
	buffer_load_dword v27, off, s[56:59], 0 offset:148 ; 4-byte Folded Reload
	buffer_load_dword v28, off, s[56:59], 0 offset:152 ; 4-byte Folded Reload
	;; [unrolled: 1-line block ×4, first 2 shown]
	v_mul_f64 v[2:3], v[20:21], s[2:3]
	v_mov_b32_e32 v26, s5
	v_add_co_u32_e32 v22, vcc, s4, v22
	v_addc_co_u32_e32 v23, vcc, v23, v26, vcc
	s_waitcnt vmcnt(0) lgkmcnt(1)
	v_mul_f64 v[20:21], v[29:30], v[10:11]
	v_mul_f64 v[24:25], v[29:30], v[8:9]
	v_fma_f64 v[8:9], v[27:28], v[8:9], v[20:21]
	v_fma_f64 v[10:11], v[27:28], v[10:11], -v[24:25]
	buffer_load_dword v27, off, s[56:59], 0 offset:68 ; 4-byte Folded Reload
	buffer_load_dword v28, off, s[56:59], 0 offset:72 ; 4-byte Folded Reload
	;; [unrolled: 1-line block ×4, first 2 shown]
	v_mul_f64 v[8:9], v[8:9], s[2:3]
	v_mul_f64 v[10:11], v[10:11], s[2:3]
	global_store_dwordx4 v[22:23], v[0:3], off
	ds_read_b128 v[0:3], v255 offset:8736
	s_waitcnt vmcnt(1)
	v_mul_f64 v[20:21], v[29:30], v[6:7]
	v_mul_f64 v[24:25], v[29:30], v[4:5]
	v_fma_f64 v[4:5], v[27:28], v[4:5], v[20:21]
	v_add_co_u32_e32 v20, vcc, s4, v22
	v_addc_co_u32_e32 v21, vcc, v23, v26, vcc
	global_store_dwordx4 v[20:21], v[8:11], off
	ds_read_b128 v[8:11], v255 offset:10608
	v_fma_f64 v[6:7], v[27:28], v[6:7], -v[24:25]
	buffer_load_dword v28, off, s[56:59], 0 offset:52 ; 4-byte Folded Reload
	buffer_load_dword v29, off, s[56:59], 0 offset:56 ; 4-byte Folded Reload
	;; [unrolled: 1-line block ×4, first 2 shown]
	v_mul_f64 v[4:5], v[4:5], s[2:3]
	v_mov_b32_e32 v27, s7
	v_add_co_u32_e32 v20, vcc, s6, v20
	v_addc_co_u32_e32 v21, vcc, v21, v27, vcc
	v_mul_f64 v[6:7], v[6:7], s[2:3]
	s_waitcnt vmcnt(0) lgkmcnt(1)
	v_mul_f64 v[22:23], v[30:31], v[2:3]
	v_mul_f64 v[24:25], v[30:31], v[0:1]
	v_fma_f64 v[0:1], v[28:29], v[0:1], v[22:23]
	v_fma_f64 v[2:3], v[28:29], v[2:3], -v[24:25]
	buffer_load_dword v28, off, s[56:59], 0 offset:100 ; 4-byte Folded Reload
	buffer_load_dword v29, off, s[56:59], 0 offset:104 ; 4-byte Folded Reload
	buffer_load_dword v30, off, s[56:59], 0 offset:108 ; 4-byte Folded Reload
	buffer_load_dword v31, off, s[56:59], 0 offset:112 ; 4-byte Folded Reload
	v_mul_f64 v[0:1], v[0:1], s[2:3]
	global_store_dwordx4 v[20:21], v[4:7], off
	v_mul_f64 v[2:3], v[2:3], s[2:3]
	v_add_co_u32_e32 v20, vcc, s4, v20
	v_addc_co_u32_e32 v21, vcc, v21, v26, vcc
	s_waitcnt vmcnt(1)
	v_mul_f64 v[22:23], v[30:31], v[18:19]
	v_mul_f64 v[24:25], v[30:31], v[16:17]
	v_fma_f64 v[4:5], v[28:29], v[16:17], v[22:23]
	v_fma_f64 v[6:7], v[28:29], v[18:19], -v[24:25]
	buffer_load_dword v22, off, s[56:59], 0 offset:84 ; 4-byte Folded Reload
	buffer_load_dword v23, off, s[56:59], 0 offset:88 ; 4-byte Folded Reload
	;; [unrolled: 1-line block ×4, first 2 shown]
	s_waitcnt vmcnt(0)
	v_mul_f64 v[16:17], v[24:25], v[14:15]
	global_store_dwordx4 v[20:21], v[0:3], off
	v_mul_f64 v[18:19], v[24:25], v[12:13]
	v_mul_f64 v[0:1], v[4:5], s[2:3]
	;; [unrolled: 1-line block ×3, first 2 shown]
	ds_read_b128 v[4:7], v255 offset:17472
	buffer_load_dword v28, off, s[56:59], 0 offset:116 ; 4-byte Folded Reload
	buffer_load_dword v29, off, s[56:59], 0 offset:120 ; 4-byte Folded Reload
	;; [unrolled: 1-line block ×4, first 2 shown]
	v_add_co_u32_e32 v20, vcc, s4, v20
	v_fma_f64 v[12:13], v[22:23], v[12:13], v[16:17]
	v_fma_f64 v[14:15], v[22:23], v[14:15], -v[18:19]
	v_addc_co_u32_e32 v21, vcc, v21, v26, vcc
	s_waitcnt vmcnt(0) lgkmcnt(1)
	v_mul_f64 v[16:17], v[30:31], v[10:11]
	v_mul_f64 v[18:19], v[30:31], v[8:9]
	buffer_load_dword v30, off, s[56:59], 0 offset:132 ; 4-byte Folded Reload
	buffer_load_dword v31, off, s[56:59], 0 offset:136 ; 4-byte Folded Reload
	;; [unrolled: 1-line block ×4, first 2 shown]
	v_fma_f64 v[8:9], v[28:29], v[8:9], v[16:17]
	v_fma_f64 v[10:11], v[28:29], v[10:11], -v[18:19]
	global_store_dwordx4 v[20:21], v[0:3], off
	v_add_co_u32_e32 v16, vcc, s6, v20
	v_mul_f64 v[0:1], v[12:13], s[2:3]
	v_mul_f64 v[2:3], v[14:15], s[2:3]
	v_addc_co_u32_e32 v17, vcc, v21, v27, vcc
	global_store_dwordx4 v[16:17], v[0:3], off
	s_nop 0
	v_add_co_u32_e32 v0, vcc, s4, v16
	v_addc_co_u32_e32 v1, vcc, v17, v26, vcc
	s_waitcnt vmcnt(2) lgkmcnt(0)
	v_mul_f64 v[22:23], v[32:33], v[6:7]
	v_mul_f64 v[24:25], v[32:33], v[4:5]
	v_fma_f64 v[12:13], v[30:31], v[4:5], v[22:23]
	v_fma_f64 v[14:15], v[30:31], v[6:7], -v[24:25]
	v_mul_f64 v[4:5], v[8:9], s[2:3]
	v_mul_f64 v[6:7], v[10:11], s[2:3]
	;; [unrolled: 1-line block ×4, first 2 shown]
	global_store_dwordx4 v[0:1], v[4:7], off
	v_add_co_u32_e32 v0, vcc, s4, v0
	v_addc_co_u32_e32 v1, vcc, v1, v26, vcc
	global_store_dwordx4 v[0:1], v[8:11], off
	s_and_b64 exec, exec, s[0:1]
	s_cbranch_execz .LBB0_31
; %bb.30:
	buffer_load_dword v14, off, s[56:59], 0 offset:4 ; 4-byte Folded Reload
	buffer_load_dword v15, off, s[56:59], 0 offset:24 ; 4-byte Folded Reload
	s_movk_i32 s0, 0x3000
	v_mov_b32_e32 v32, s7
	v_mov_b32_e32 v33, s5
	s_waitcnt vmcnt(1)
	v_add_co_u32_e32 v10, vcc, 0x1000, v14
	s_waitcnt vmcnt(0)
	v_addc_co_u32_e32 v11, vcc, 0, v15, vcc
	v_add_co_u32_e32 v12, vcc, s0, v14
	v_addc_co_u32_e32 v13, vcc, 0, v15, vcc
	s_movk_i32 s0, 0x4000
	global_load_dwordx4 v[2:5], v[10:11], off offset:1520
	global_load_dwordx4 v[6:9], v[12:13], off offset:192
	v_add_co_u32_e32 v10, vcc, s0, v14
	v_addc_co_u32_e32 v11, vcc, 0, v15, vcc
	global_load_dwordx4 v[10:13], v[10:11], off offset:2960
	ds_read_b128 v[14:17], v255 offset:5616
	ds_read_b128 v[18:21], v255 offset:12480
	;; [unrolled: 1-line block ×3, first 2 shown]
	s_waitcnt vmcnt(2) lgkmcnt(2)
	v_mul_f64 v[26:27], v[16:17], v[4:5]
	v_mul_f64 v[4:5], v[14:15], v[4:5]
	s_waitcnt vmcnt(1) lgkmcnt(1)
	v_mul_f64 v[28:29], v[20:21], v[8:9]
	v_mul_f64 v[8:9], v[18:19], v[8:9]
	;; [unrolled: 3-line block ×3, first 2 shown]
	v_fma_f64 v[14:15], v[14:15], v[2:3], v[26:27]
	v_fma_f64 v[2:3], v[2:3], v[16:17], -v[4:5]
	v_fma_f64 v[4:5], v[18:19], v[6:7], v[28:29]
	v_fma_f64 v[6:7], v[6:7], v[20:21], -v[8:9]
	;; [unrolled: 2-line block ×3, first 2 shown]
	v_add_co_u32_e32 v12, vcc, s6, v0
	v_addc_co_u32_e32 v13, vcc, v1, v32, vcc
	v_mul_f64 v[0:1], v[14:15], s[2:3]
	v_mul_f64 v[2:3], v[2:3], s[2:3]
	;; [unrolled: 1-line block ×6, first 2 shown]
	v_add_co_u32_e32 v14, vcc, s4, v12
	v_addc_co_u32_e32 v15, vcc, v13, v33, vcc
	v_add_co_u32_e32 v16, vcc, s4, v14
	v_addc_co_u32_e32 v17, vcc, v15, v33, vcc
	global_store_dwordx4 v[12:13], v[0:3], off
	global_store_dwordx4 v[14:15], v[4:7], off
	;; [unrolled: 1-line block ×3, first 2 shown]
.LBB0_31:
	s_endpgm
	.section	.rodata,"a",@progbits
	.p2align	6, 0x0
	.amdhsa_kernel bluestein_single_fwd_len1287_dim1_dp_op_CI_CI
		.amdhsa_group_segment_fixed_size 20592
		.amdhsa_private_segment_fixed_size 480
		.amdhsa_kernarg_size 104
		.amdhsa_user_sgpr_count 6
		.amdhsa_user_sgpr_private_segment_buffer 1
		.amdhsa_user_sgpr_dispatch_ptr 0
		.amdhsa_user_sgpr_queue_ptr 0
		.amdhsa_user_sgpr_kernarg_segment_ptr 1
		.amdhsa_user_sgpr_dispatch_id 0
		.amdhsa_user_sgpr_flat_scratch_init 0
		.amdhsa_user_sgpr_private_segment_size 0
		.amdhsa_uses_dynamic_stack 0
		.amdhsa_system_sgpr_private_segment_wavefront_offset 1
		.amdhsa_system_sgpr_workgroup_id_x 1
		.amdhsa_system_sgpr_workgroup_id_y 0
		.amdhsa_system_sgpr_workgroup_id_z 0
		.amdhsa_system_sgpr_workgroup_info 0
		.amdhsa_system_vgpr_workitem_id 0
		.amdhsa_next_free_vgpr 256
		.amdhsa_next_free_sgpr 60
		.amdhsa_reserve_vcc 1
		.amdhsa_reserve_flat_scratch 0
		.amdhsa_float_round_mode_32 0
		.amdhsa_float_round_mode_16_64 0
		.amdhsa_float_denorm_mode_32 3
		.amdhsa_float_denorm_mode_16_64 3
		.amdhsa_dx10_clamp 1
		.amdhsa_ieee_mode 1
		.amdhsa_fp16_overflow 0
		.amdhsa_exception_fp_ieee_invalid_op 0
		.amdhsa_exception_fp_denorm_src 0
		.amdhsa_exception_fp_ieee_div_zero 0
		.amdhsa_exception_fp_ieee_overflow 0
		.amdhsa_exception_fp_ieee_underflow 0
		.amdhsa_exception_fp_ieee_inexact 0
		.amdhsa_exception_int_div_zero 0
	.end_amdhsa_kernel
	.text
.Lfunc_end0:
	.size	bluestein_single_fwd_len1287_dim1_dp_op_CI_CI, .Lfunc_end0-bluestein_single_fwd_len1287_dim1_dp_op_CI_CI
                                        ; -- End function
	.section	.AMDGPU.csdata,"",@progbits
; Kernel info:
; codeLenInByte = 25708
; NumSgprs: 64
; NumVgprs: 256
; ScratchSize: 480
; MemoryBound: 0
; FloatMode: 240
; IeeeMode: 1
; LDSByteSize: 20592 bytes/workgroup (compile time only)
; SGPRBlocks: 7
; VGPRBlocks: 63
; NumSGPRsForWavesPerEU: 64
; NumVGPRsForWavesPerEU: 256
; Occupancy: 1
; WaveLimiterHint : 1
; COMPUTE_PGM_RSRC2:SCRATCH_EN: 1
; COMPUTE_PGM_RSRC2:USER_SGPR: 6
; COMPUTE_PGM_RSRC2:TRAP_HANDLER: 0
; COMPUTE_PGM_RSRC2:TGID_X_EN: 1
; COMPUTE_PGM_RSRC2:TGID_Y_EN: 0
; COMPUTE_PGM_RSRC2:TGID_Z_EN: 0
; COMPUTE_PGM_RSRC2:TIDIG_COMP_CNT: 0
	.type	__hip_cuid_eaae92ec661aebc1,@object ; @__hip_cuid_eaae92ec661aebc1
	.section	.bss,"aw",@nobits
	.globl	__hip_cuid_eaae92ec661aebc1
__hip_cuid_eaae92ec661aebc1:
	.byte	0                               ; 0x0
	.size	__hip_cuid_eaae92ec661aebc1, 1

	.ident	"AMD clang version 19.0.0git (https://github.com/RadeonOpenCompute/llvm-project roc-6.4.0 25133 c7fe45cf4b819c5991fe208aaa96edf142730f1d)"
	.section	".note.GNU-stack","",@progbits
	.addrsig
	.addrsig_sym __hip_cuid_eaae92ec661aebc1
	.amdgpu_metadata
---
amdhsa.kernels:
  - .args:
      - .actual_access:  read_only
        .address_space:  global
        .offset:         0
        .size:           8
        .value_kind:     global_buffer
      - .actual_access:  read_only
        .address_space:  global
        .offset:         8
        .size:           8
        .value_kind:     global_buffer
      - .actual_access:  read_only
        .address_space:  global
        .offset:         16
        .size:           8
        .value_kind:     global_buffer
      - .actual_access:  read_only
        .address_space:  global
        .offset:         24
        .size:           8
        .value_kind:     global_buffer
      - .actual_access:  read_only
        .address_space:  global
        .offset:         32
        .size:           8
        .value_kind:     global_buffer
      - .offset:         40
        .size:           8
        .value_kind:     by_value
      - .address_space:  global
        .offset:         48
        .size:           8
        .value_kind:     global_buffer
      - .address_space:  global
        .offset:         56
        .size:           8
        .value_kind:     global_buffer
      - .address_space:  global
        .offset:         64
        .size:           8
        .value_kind:     global_buffer
      - .address_space:  global
        .offset:         72
        .size:           8
        .value_kind:     global_buffer
      - .offset:         80
        .size:           4
        .value_kind:     by_value
      - .address_space:  global
        .offset:         88
        .size:           8
        .value_kind:     global_buffer
      - .address_space:  global
        .offset:         96
        .size:           8
        .value_kind:     global_buffer
    .group_segment_fixed_size: 20592
    .kernarg_segment_align: 8
    .kernarg_segment_size: 104
    .language:       OpenCL C
    .language_version:
      - 2
      - 0
    .max_flat_workgroup_size: 117
    .name:           bluestein_single_fwd_len1287_dim1_dp_op_CI_CI
    .private_segment_fixed_size: 480
    .sgpr_count:     64
    .sgpr_spill_count: 0
    .symbol:         bluestein_single_fwd_len1287_dim1_dp_op_CI_CI.kd
    .uniform_work_group_size: 1
    .uses_dynamic_stack: false
    .vgpr_count:     256
    .vgpr_spill_count: 161
    .wavefront_size: 64
amdhsa.target:   amdgcn-amd-amdhsa--gfx906
amdhsa.version:
  - 1
  - 2
...

	.end_amdgpu_metadata
